;; amdgpu-corpus repo=ROCm/rocFFT kind=compiled arch=gfx1201 opt=O3
	.text
	.amdgcn_target "amdgcn-amd-amdhsa--gfx1201"
	.amdhsa_code_object_version 6
	.protected	bluestein_single_fwd_len768_dim1_half_op_CI_CI ; -- Begin function bluestein_single_fwd_len768_dim1_half_op_CI_CI
	.globl	bluestein_single_fwd_len768_dim1_half_op_CI_CI
	.p2align	8
	.type	bluestein_single_fwd_len768_dim1_half_op_CI_CI,@function
bluestein_single_fwd_len768_dim1_half_op_CI_CI: ; @bluestein_single_fwd_len768_dim1_half_op_CI_CI
; %bb.0:
	s_load_b128 s[12:15], s[0:1], 0x28
	v_mul_u32_u24_e32 v1, 0x556, v0
	s_mov_b32 s2, exec_lo
	v_mov_b32_e32 v16, 0
	s_delay_alu instid0(VALU_DEP_2) | instskip(NEXT) | instid1(VALU_DEP_1)
	v_lshrrev_b32_e32 v1, 16, v1
	v_add_nc_u32_e32 v15, ttmp9, v1
	s_wait_kmcnt 0x0
	s_delay_alu instid0(VALU_DEP_1)
	v_cmpx_gt_u64_e64 s[12:13], v[15:16]
	s_cbranch_execz .LBB0_10
; %bb.1:
	s_clause 0x1
	s_load_b128 s[4:7], s[0:1], 0x18
	s_load_b128 s[8:11], s[0:1], 0x0
	v_mul_lo_u16 v1, v1, 48
	s_delay_alu instid0(VALU_DEP_1)
	v_sub_nc_u16 v1, v0, v1
	s_wait_kmcnt 0x0
	s_load_b128 s[16:19], s[4:5], 0x0
	s_wait_kmcnt 0x0
	v_mad_co_u64_u32 v[2:3], null, s18, v15, 0
	v_and_b32_e32 v59, 0xffff, v1
	s_mul_u64 s[2:3], s[16:17], 0xc0
	s_mul_u64 s[4:5], s[16:17], 0x180
	s_delay_alu instid0(VALU_DEP_2) | instskip(NEXT) | instid1(VALU_DEP_2)
	v_mov_b32_e32 v0, v3
	v_or_b32_e32 v50, 0xc0, v59
	v_or_b32_e32 v42, 0x180, v59
	;; [unrolled: 1-line block ×3, first 2 shown]
	v_mad_co_u64_u32 v[4:5], null, s16, v59, 0
	s_delay_alu instid0(VALU_DEP_4) | instskip(NEXT) | instid1(VALU_DEP_4)
	v_mad_co_u64_u32 v[6:7], null, s16, v50, 0
	v_mad_co_u64_u32 v[8:9], null, s16, v42, 0
	s_delay_alu instid0(VALU_DEP_4) | instskip(NEXT) | instid1(VALU_DEP_4)
	v_mad_co_u64_u32 v[10:11], null, s16, v33, 0
	v_dual_mov_b32 v3, v5 :: v_dual_lshlrev_b32 v56, 2, v59
	s_delay_alu instid0(VALU_DEP_4)
	v_mov_b32_e32 v5, v7
	s_clause 0x7
	global_load_b32 v66, v56, s[8:9]
	global_load_b32 v65, v56, s[8:9] offset:192
	global_load_b32 v62, v56, s[8:9] offset:384
	;; [unrolled: 1-line block ×7, first 2 shown]
	v_dual_mov_b32 v7, v9 :: v_dual_add_nc_u32 v20, 0x600, v56
	v_dual_mov_b32 v9, v11 :: v_dual_add_nc_u32 v22, 0x800, v56
	v_mad_co_u64_u32 v[11:12], null, s19, v15, v[0:1]
	v_mad_co_u64_u32 v[12:13], null, s17, v59, v[3:4]
	s_delay_alu instid0(VALU_DEP_4) | instskip(NEXT) | instid1(VALU_DEP_4)
	v_mad_co_u64_u32 v[16:17], null, s17, v42, v[7:8]
	v_mad_co_u64_u32 v[17:18], null, s17, v33, v[9:10]
	s_delay_alu instid0(VALU_DEP_4) | instskip(SKIP_3) | instid1(VALU_DEP_4)
	v_mov_b32_e32 v3, v11
	v_mad_co_u64_u32 v[13:14], null, s17, v50, v[5:6]
	v_mov_b32_e32 v5, v12
	v_mov_b32_e32 v9, v16
	v_lshlrev_b64_e32 v[2:3], 2, v[2:3]
	v_mov_b32_e32 v11, v17
	s_clause 0x7
	global_load_b32 v48, v56, s[8:9] offset:1536
	global_load_b32 v46, v56, s[8:9] offset:1728
	;; [unrolled: 1-line block ×8, first 2 shown]
	v_lshlrev_b64_e32 v[4:5], 2, v[4:5]
	v_lshlrev_b64_e32 v[8:9], 2, v[8:9]
	v_mov_b32_e32 v7, v13
	v_add_co_u32 v0, vcc_lo, s14, v2
	v_add_co_ci_u32_e32 v12, vcc_lo, s15, v3, vcc_lo
	v_lshlrev_b64_e32 v[2:3], 2, v[10:11]
	s_delay_alu instid0(VALU_DEP_3) | instskip(SKIP_1) | instid1(VALU_DEP_3)
	v_add_co_u32 v4, vcc_lo, v0, v4
	s_wait_alu 0xfffd
	v_add_co_ci_u32_e32 v5, vcc_lo, v12, v5, vcc_lo
	v_add_co_u32 v8, vcc_lo, v0, v8
	s_wait_alu 0xfffd
	v_add_co_ci_u32_e32 v9, vcc_lo, v12, v9, vcc_lo
	;; [unrolled: 3-line block ×3, first 2 shown]
	global_load_b32 v10, v[4:5], off
	v_add_co_u32 v4, vcc_lo, v4, s2
	s_wait_alu 0xfffd
	v_add_co_ci_u32_e32 v5, vcc_lo, s3, v5, vcc_lo
	s_clause 0x1
	global_load_b32 v8, v[8:9], off
	global_load_b32 v9, v[2:3], off
	v_add_co_u32 v2, vcc_lo, v4, s2
	s_wait_alu 0xfffd
	v_add_co_ci_u32_e32 v3, vcc_lo, s3, v5, vcc_lo
	global_load_b32 v11, v[4:5], off
	v_lshlrev_b64_e32 v[4:5], 2, v[6:7]
	v_add_nc_u32_e32 v21, 0x400, v56
	global_load_b32 v6, v[2:3], off
	v_add_co_u32 v2, vcc_lo, v2, s2
	s_wait_alu 0xfffd
	v_add_co_ci_u32_e32 v3, vcc_lo, s3, v3, vcc_lo
	v_add_co_u32 v4, vcc_lo, v0, v4
	s_wait_alu 0xfffd
	v_add_co_ci_u32_e32 v5, vcc_lo, v12, v5, vcc_lo
	s_clause 0x1
	global_load_b32 v0, v[2:3], off
	global_load_b32 v7, v[4:5], off
	v_add_co_u32 v2, vcc_lo, v2, s4
	s_wait_alu 0xfffd
	v_add_co_ci_u32_e32 v3, vcc_lo, s5, v3, vcc_lo
	global_load_b32 v12, v[2:3], off
	v_add_co_u32 v2, vcc_lo, v2, s2
	s_wait_alu 0xfffd
	v_add_co_ci_u32_e32 v3, vcc_lo, s3, v3, vcc_lo
	s_delay_alu instid0(VALU_DEP_2) | instskip(SKIP_1) | instid1(VALU_DEP_2)
	v_add_co_u32 v4, vcc_lo, v2, s2
	s_wait_alu 0xfffd
	v_add_co_ci_u32_e32 v5, vcc_lo, s3, v3, vcc_lo
	global_load_b32 v13, v[2:3], off
	global_load_b32 v14, v[4:5], off
	v_add_co_u32 v2, vcc_lo, v4, s4
	s_wait_alu 0xfffd
	v_add_co_ci_u32_e32 v3, vcc_lo, s5, v5, vcc_lo
	s_delay_alu instid0(VALU_DEP_2) | instskip(SKIP_1) | instid1(VALU_DEP_2)
	v_add_co_u32 v4, vcc_lo, v2, s2
	s_wait_alu 0xfffd
	v_add_co_ci_u32_e32 v5, vcc_lo, s3, v3, vcc_lo
	global_load_b32 v16, v[2:3], off
	v_add_co_u32 v2, vcc_lo, v4, s2
	s_wait_alu 0xfffd
	v_add_co_ci_u32_e32 v3, vcc_lo, s3, v5, vcc_lo
	global_load_b32 v17, v[4:5], off
	;; [unrolled: 4-line block ×5, first 2 shown]
	global_load_b32 v3, v[4:5], off
	s_load_b128 s[4:7], s[6:7], 0x0
	s_load_b64 s[2:3], s[0:1], 0x38
	v_cmp_gt_u16_e32 vcc_lo, 16, v1
	s_wait_loadcnt 0x1f
	v_lshrrev_b32_e32 v68, 16, v66
	s_wait_loadcnt 0x1e
	v_lshrrev_b32_e32 v67, 16, v65
	;; [unrolled: 2-line block ×17, first 2 shown]
	v_mul_f16_e32 v5, v68, v10
	s_wait_loadcnt 0xe
	v_lshrrev_b32_e32 v23, 16, v8
	v_mul_f16_e32 v24, v49, v8
	s_wait_loadcnt 0xd
	v_lshrrev_b32_e32 v25, 16, v9
	v_mul_f16_e32 v26, v40, v9
	v_mul_f16_e32 v27, v68, v4
	v_fma_f16 v4, v66, v4, -v5
	s_wait_loadcnt 0xc
	v_lshrrev_b32_e32 v5, 16, v11
	v_mul_f16_e32 v28, v67, v11
	v_mul_f16_e32 v29, v49, v23
	v_fma_f16 v23, v48, v23, -v24
	v_mul_f16_e32 v24, v40, v25
	v_fma_f16 v25, v39, v25, -v26
	v_fmac_f16_e32 v27, v66, v10
	v_mul_f16_e32 v10, v67, v5
	v_fma_f16 v5, v65, v5, -v28
	s_wait_loadcnt 0xb
	v_lshrrev_b32_e32 v26, 16, v6
	v_mul_f16_e32 v28, v64, v6
	v_fmac_f16_e32 v29, v48, v8
	v_fmac_f16_e32 v24, v39, v9
	v_pack_b32_f16 v4, v27, v4
	v_fmac_f16_e32 v10, v65, v11
	v_mul_f16_e32 v8, v64, v26
	v_fma_f16 v9, v62, v26, -v28
	s_wait_loadcnt 0xa
	v_lshrrev_b32_e32 v11, 16, v0
	v_mul_f16_e32 v26, v63, v0
	s_wait_loadcnt 0x9
	v_lshrrev_b32_e32 v27, 16, v7
	v_mul_f16_e32 v28, v60, v7
	v_pack_b32_f16 v5, v10, v5
	v_fmac_f16_e32 v8, v62, v6
	v_mul_f16_e32 v6, v63, v11
	v_fma_f16 v10, v61, v11, -v26
	v_mul_f16_e32 v11, v60, v27
	s_wait_loadcnt 0x8
	v_lshrrev_b32_e32 v26, 16, v12
	v_pack_b32_f16 v24, v24, v25
	v_fma_f16 v25, v58, v27, -v28
	v_mul_f16_e32 v27, v57, v12
	ds_store_2addr_b32 v56, v4, v5 offset1:48
	v_pack_b32_f16 v4, v8, v9
	v_fmac_f16_e32 v6, v61, v0
	v_fmac_f16_e32 v11, v58, v7
	v_mul_f16_e32 v0, v57, v26
	s_wait_loadcnt 0x7
	v_lshrrev_b32_e32 v7, 16, v13
	v_mul_f16_e32 v8, v54, v13
	v_fma_f16 v5, v55, v26, -v27
	v_pack_b32_f16 v6, v6, v10
	v_pack_b32_f16 v9, v11, v25
	v_fmac_f16_e32 v0, v55, v12
	v_mul_f16_e32 v10, v54, v7
	v_fma_f16 v7, v52, v7, -v8
	s_wait_loadcnt 0x6
	v_lshrrev_b32_e32 v8, 16, v14
	v_mul_f16_e32 v11, v53, v14
	ds_store_2addr_b32 v56, v4, v6 offset0:96 offset1:144
	v_pack_b32_f16 v0, v0, v5
	v_fmac_f16_e32 v10, v52, v13
	v_mul_f16_e32 v4, v53, v8
	v_fma_f16 v5, v51, v8, -v11
	s_wait_loadcnt 0x5
	v_lshrrev_b32_e32 v6, 16, v16
	v_mul_f16_e32 v8, v47, v16
	ds_store_2addr_b32 v56, v9, v0 offset0:192 offset1:240
	v_pack_b32_f16 v0, v10, v7
	v_fmac_f16_e32 v4, v51, v14
	v_mul_f16_e32 v7, v47, v6
	v_fma_f16 v6, v46, v6, -v8
	s_wait_loadcnt 0x4
	v_lshrrev_b32_e32 v8, 16, v17
	v_mul_f16_e32 v9, v45, v17
	v_pack_b32_f16 v4, v4, v5
	v_fmac_f16_e32 v7, v46, v16
	s_wait_loadcnt 0x3
	v_lshrrev_b32_e32 v5, 16, v18
	v_mul_f16_e32 v10, v45, v8
	v_fma_f16 v8, v43, v8, -v9
	v_mul_f16_e32 v9, v44, v18
	s_wait_loadcnt 0x2
	v_lshrrev_b32_e32 v11, 16, v19
	v_pack_b32_f16 v6, v7, v6
	v_mul_f16_e32 v7, v44, v5
	s_wait_loadcnt 0x1
	v_lshrrev_b32_e32 v12, 16, v2
	v_fma_f16 v5, v41, v5, -v9
	v_mul_f16_e32 v9, v38, v19
	s_wait_loadcnt 0x0
	v_lshrrev_b32_e32 v14, 16, v3
	v_mul_f16_e32 v13, v38, v11
	v_fmac_f16_e32 v10, v43, v17
	v_fmac_f16_e32 v7, v41, v18
	v_fma_f16 v9, v37, v11, -v9
	v_mul_f16_e32 v11, v36, v2
	v_mul_f16_e32 v16, v36, v12
	;; [unrolled: 1-line block ×4, first 2 shown]
	v_fmac_f16_e32 v13, v37, v19
	v_fma_f16 v11, v35, v12, -v11
	v_fmac_f16_e32 v16, v35, v2
	v_fma_f16 v2, v32, v14, -v17
	v_fmac_f16_e32 v18, v32, v3
	v_pack_b32_f16 v23, v29, v23
	v_pack_b32_f16 v3, v10, v8
	;; [unrolled: 1-line block ×6, first 2 shown]
	ds_store_2addr_b32 v21, v0, v4 offset0:32 offset1:80
	ds_store_2addr_b32 v21, v23, v6 offset0:128 offset1:176
	;; [unrolled: 1-line block ×5, first 2 shown]
	global_wb scope:SCOPE_SE
	s_wait_dscnt 0x0
	s_wait_kmcnt 0x0
	s_barrier_signal -1
	s_barrier_wait -1
	global_inv scope:SCOPE_SE
	ds_load_2addr_b32 v[2:3], v56 offset1:48
	ds_load_2addr_b32 v[4:5], v56 offset0:96 offset1:144
	ds_load_2addr_b32 v[6:7], v56 offset0:192 offset1:240
	;; [unrolled: 1-line block ×7, first 2 shown]
	v_lshlrev_b16 v0, 4, v1
	global_wb scope:SCOPE_SE
	s_wait_dscnt 0x0
	s_barrier_signal -1
	s_barrier_wait -1
	global_inv scope:SCOPE_SE
	v_and_b32_e32 v0, 0xffff, v0
	s_delay_alu instid0(VALU_DEP_1)
	v_lshlrev_b32_e32 v20, 2, v0
	v_pk_add_f16 v0, v2, v10 neg_lo:[0,1] neg_hi:[0,1]
	v_pk_add_f16 v10, v6, v12 neg_lo:[0,1] neg_hi:[0,1]
	;; [unrolled: 1-line block ×8, first 2 shown]
	v_pk_fma_f16 v2, v2, 2.0, v0 op_sel_hi:[1,0,1] neg_lo:[0,0,1] neg_hi:[0,0,1]
	v_pk_fma_f16 v6, v6, 2.0, v10 op_sel_hi:[1,0,1] neg_lo:[0,0,1] neg_hi:[0,0,1]
	;; [unrolled: 1-line block ×8, first 2 shown]
	v_lshrrev_b32_e32 v18, 16, v10
	v_lshrrev_b32_e32 v19, 16, v0
	;; [unrolled: 1-line block ×8, first 2 shown]
	v_pk_add_f16 v6, v2, v6 neg_lo:[0,1] neg_hi:[0,1]
	v_sub_f16_e32 v18, v0, v18
	v_add_f16_e32 v10, v19, v10
	v_pk_add_f16 v8, v4, v8 neg_lo:[0,1] neg_hi:[0,1]
	v_sub_f16_e32 v23, v12, v23
	v_add_f16_e32 v14, v24, v14
	;; [unrolled: 3-line block ×4, first 2 shown]
	v_pk_fma_f16 v2, v2, 2.0, v6 op_sel_hi:[1,0,1] neg_lo:[0,0,1] neg_hi:[0,0,1]
	v_fma_f16 v29, v0, 2.0, -v18
	v_fma_f16 v19, v19, 2.0, -v10
	v_pk_fma_f16 v0, v4, 2.0, v8 op_sel_hi:[1,0,1] neg_lo:[0,0,1] neg_hi:[0,0,1]
	v_fma_f16 v4, v12, 2.0, -v23
	v_fma_f16 v12, v24, 2.0, -v14
	;; [unrolled: 3-line block ×4, first 2 shown]
	v_fmamk_f16 v69, v14, 0x39a8, v10
	v_lshrrev_b32_e32 v28, 16, v8
	v_lshrrev_b32_e32 v30, 16, v6
	v_fmamk_f16 v31, v23, 0x39a8, v18
	v_lshrrev_b32_e32 v70, 16, v9
	v_lshrrev_b32_e32 v71, 16, v7
	v_fmamk_f16 v72, v27, 0x39a8, v25
	v_fmamk_f16 v73, v17, 0x39a8, v13
	v_pk_add_f16 v74, v2, v0 neg_lo:[0,1] neg_hi:[0,1]
	v_fmamk_f16 v75, v4, 0xb9a8, v29
	v_fmamk_f16 v76, v12, 0xb9a8, v19
	v_fmac_f16_e32 v69, 0x39a8, v23
	v_pk_add_f16 v5, v3, v5 neg_lo:[0,1] neg_hi:[0,1]
	v_fmamk_f16 v23, v16, 0xb9a8, v11
	v_fmamk_f16 v77, v26, 0xb9a8, v24
	v_sub_f16_e32 v28, v6, v28
	v_add_f16_e32 v8, v30, v8
	v_fmac_f16_e32 v31, 0xb9a8, v14
	v_sub_f16_e32 v70, v7, v70
	v_add_f16_e32 v9, v71, v9
	v_fmac_f16_e32 v72, 0xb9a8, v17
	v_fmac_f16_e32 v73, 0x39a8, v27
	v_pk_fma_f16 v17, v2, 2.0, v74 op_sel_hi:[1,0,1] neg_lo:[0,0,1] neg_hi:[0,0,1]
	v_fmac_f16_e32 v75, 0xb9a8, v12
	v_fmac_f16_e32 v76, 0x39a8, v4
	v_pk_fma_f16 v2, v3, 2.0, v5 op_sel_hi:[1,0,1] neg_lo:[0,0,1] neg_hi:[0,0,1]
	v_fmac_f16_e32 v23, 0xb9a8, v26
	v_fmac_f16_e32 v77, 0x39a8, v16
	v_fma_f16 v4, v6, 2.0, -v28
	v_fma_f16 v27, v30, 2.0, -v8
	;; [unrolled: 1-line block ×8, first 2 shown]
	v_lshrrev_b32_e32 v6, 16, v5
	v_lshrrev_b32_e32 v13, 16, v74
	v_fmamk_f16 v16, v70, 0x39a8, v28
	v_fmamk_f16 v25, v9, 0x39a8, v8
	;; [unrolled: 1-line block ×4, first 2 shown]
	v_fma_f16 v26, v29, 2.0, -v75
	v_fma_f16 v29, v19, 2.0, -v76
	;; [unrolled: 1-line block ×4, first 2 shown]
	v_pk_add_f16 v2, v17, v2 neg_lo:[0,1] neg_hi:[0,1]
	v_fmamk_f16 v24, v3, 0xb9a8, v4
	v_fmamk_f16 v71, v7, 0xb9a8, v27
	;; [unrolled: 1-line block ×4, first 2 shown]
	v_sub_f16_e32 v80, v74, v6
	v_add_f16_e32 v5, v13, v5
	v_fmamk_f16 v82, v77, 0x361f, v76
	v_fmac_f16_e32 v16, 0xb9a8, v9
	v_fmac_f16_e32 v25, 0x39a8, v70
	;; [unrolled: 1-line block ×4, first 2 shown]
	v_pk_fma_f16 v6, v17, 2.0, v2 op_sel_hi:[1,0,1] neg_lo:[0,0,1] neg_hi:[0,0,1]
	v_fmamk_f16 v17, v11, 0xbb64, v26
	v_fmamk_f16 v70, v19, 0xbb64, v29
	v_fmamk_f16 v81, v23, 0x361f, v75
	v_fmac_f16_e32 v24, 0xb9a8, v7
	v_fmac_f16_e32 v71, 0x39a8, v3
	;; [unrolled: 1-line block ×4, first 2 shown]
	v_fma_f16 v3, v74, 2.0, -v80
	v_fma_f16 v7, v13, 2.0, -v5
	v_fmac_f16_e32 v82, 0x3b64, v23
	v_fma_f16 v9, v28, 2.0, -v16
	v_fma_f16 v23, v31, 2.0, -v0
	;; [unrolled: 1-line block ×3, first 2 shown]
	v_fmac_f16_e32 v17, 0xb61f, v19
	v_fmac_f16_e32 v70, 0x361f, v11
	;; [unrolled: 1-line block ×3, first 2 shown]
	v_fma_f16 v8, v8, 2.0, -v25
	v_pack_b32_f16 v12, v16, v25
	v_fma_f16 v25, v4, 2.0, -v24
	v_fma_f16 v27, v27, 2.0, -v71
	;; [unrolled: 1-line block ×4, first 2 shown]
	v_pack_b32_f16 v19, v23, v28
	v_pack_b32_f16 v16, v3, v7
	v_fma_f16 v7, v26, 2.0, -v17
	v_fma_f16 v23, v29, 2.0, -v70
	;; [unrolled: 1-line block ×4, first 2 shown]
	v_pack_b32_f16 v10, v80, v5
	v_pack_b32_f16 v5, v78, v79
	;; [unrolled: 1-line block ×11, first 2 shown]
	ds_store_b128 v20, v[2:5] offset:32
	ds_store_b128 v20, v[10:13] offset:48
	ds_store_b128 v20, v[6:9]
	ds_store_b128 v20, v[16:19] offset:16
	global_wb scope:SCOPE_SE
	s_wait_dscnt 0x0
	s_barrier_signal -1
	s_barrier_wait -1
	global_inv scope:SCOPE_SE
	ds_load_2addr_b32 v[2:3], v56 offset1:48
	ds_load_2addr_b32 v[16:17], v22 offset1:48
	ds_load_2addr_b32 v[12:13], v21 offset0:48 offset1:96
	ds_load_2addr_b32 v[4:5], v56 offset0:96 offset1:144
	;; [unrolled: 1-line block ×4, first 2 shown]
	ds_load_2addr_stride64_b32 v[6:7], v56 offset0:3 offset1:4
	ds_load_b32 v21, v56 offset:2816
	v_add_co_u32 v18, s0, s8, v56
	s_wait_alu 0xf1ff
	v_add_co_ci_u32_e64 v19, null, s9, 0, s0
                                        ; kill: def $vgpr1 killed $sgpr0 killed $exec
                                        ; implicit-def: $vgpr23
                                        ; implicit-def: $vgpr22
                                        ; implicit-def: $vgpr24
	s_and_saveexec_b32 s0, vcc_lo
	s_cbranch_execz .LBB0_3
; %bb.2:
	v_add_nc_u32_e32 v0, 0xc0, v56
	ds_load_2addr_stride64_b32 v[0:1], v0 offset0:3 offset1:7
	ds_load_b32 v22, v56 offset:3008
	s_wait_dscnt 0x1
	v_lshrrev_b32_e32 v14, 16, v0
	v_lshrrev_b32_e32 v23, 16, v1
	s_wait_dscnt 0x0
	v_lshrrev_b32_e32 v24, 16, v22
.LBB0_3:
	s_wait_alu 0xfffe
	s_or_b32 exec_lo, exec_lo, s0
	v_lshlrev_b32_e32 v25, 3, v59
	v_add_nc_u32_e32 v27, 0x60, v59
	v_add_nc_u32_e32 v28, 0x90, v59
	v_lshrrev_b32_e32 v74, 4, v59
	v_lshrrev_b32_e32 v75, 4, v50
	v_and_b32_e32 v25, 0x78, v25
	v_lshrrev_b32_e32 v27, 4, v27
	v_lshrrev_b32_e32 v28, 4, v28
	v_mul_u32_u24_e32 v74, 48, v74
	v_mul_u32_u24_e32 v75, 48, v75
	s_clause 0x3
	global_load_b32 v69, v25, s[10:11]
	global_load_b32 v71, v25, s[10:11] offset:2
	global_load_b32 v70, v25, s[10:11] offset:4
	global_load_u16 v72, v25, s[10:11] offset:6
	v_and_b32_e32 v25, 15, v59
	v_mul_u32_u24_e32 v27, 48, v27
	v_mul_u32_u24_e32 v28, 48, v28
	s_wait_dscnt 0x1
	v_lshrrev_b32_e32 v30, 16, v7
	v_lshrrev_b32_e32 v31, 16, v16
	v_lshlrev_b32_e32 v26, 3, v25
	v_or_b32_e32 v74, v74, v25
	v_or_b32_e32 v75, v75, v25
	;; [unrolled: 1-line block ×3, first 2 shown]
	v_lshrrev_b32_e32 v79, 16, v12
	global_load_u16 v73, v26, s[10:11]
	v_add_nc_u32_e32 v26, 48, v59
	v_lshrrev_b32_e32 v80, 16, v17
	v_lshrrev_b32_e32 v81, 16, v13
	;; [unrolled: 1-line block ×7, first 2 shown]
	s_wait_dscnt 0x0
	v_lshrrev_b32_e32 v93, 16, v21
	v_lshlrev_b32_e32 v77, 2, v74
	v_mul_u32_u24_e32 v26, 48, v26
	v_lshlrev_b32_e32 v74, 2, v75
	v_lshlrev_b32_e32 v76, 2, v27
	v_lshrrev_b32_e32 v29, 16, v2
	v_lshrrev_b32_e32 v88, 16, v5
	v_or_b32_e32 v26, v26, v25
	v_or_b32_e32 v25, v28, v25
	v_lshrrev_b32_e32 v91, 16, v6
	v_lshrrev_b32_e32 v85, 16, v3
	;; [unrolled: 1-line block ×3, first 2 shown]
	v_lshlrev_b32_e32 v78, 2, v26
	v_lshlrev_b32_e32 v75, 2, v25
	global_wb scope:SCOPE_SE
	s_wait_loadcnt 0x0
	s_barrier_signal -1
	s_barrier_wait -1
	global_inv scope:SCOPE_SE
	v_lshrrev_b32_e32 v84, 16, v69
	v_lshrrev_b32_e32 v82, 16, v71
	;; [unrolled: 1-line block ×3, first 2 shown]
	v_mul_f16_e32 v27, v23, v71
	v_mul_f16_e32 v26, v1, v71
	;; [unrolled: 1-line block ×24, first 2 shown]
	v_fma_f16 v1, v1, v69, -v27
	v_fmac_f16_e32 v26, v23, v69
	v_fma_f16 v22, v22, v70, -v28
	v_fmac_f16_e32 v25, v24, v70
	;; [unrolled: 2-line block ×12, first 2 shown]
	v_add_f16_e32 v23, v1, v22
	v_add_f16_e32 v27, v26, v25
	;; [unrolled: 1-line block ×4, first 2 shown]
	v_sub_f16_e32 v87, v95, v97
	v_add_f16_e32 v81, v29, v95
	v_add_f16_e32 v92, v12, v17
	v_add_f16_e32 v95, v99, v101
	v_add_f16_e32 v98, v13, v10
	v_add_f16_e32 v102, v103, v105
	v_sub_f16_e32 v24, v26, v25
	v_sub_f16_e32 v28, v1, v22
	v_add_f16_e32 v30, v2, v7
	v_sub_f16_e32 v7, v7, v16
	v_add_f16_e32 v90, v3, v12
	v_add_f16_e32 v104, v8, v11
	v_sub_f16_e32 v106, v107, v109
	v_add_f16_e32 v108, v88, v107
	v_add_f16_e32 v107, v107, v109
	;; [unrolled: 1-line block ×3, first 2 shown]
	v_sub_f16_e32 v114, v111, v113
	v_add_f16_e32 v115, v91, v111
	v_add_f16_e32 v111, v111, v113
	v_fma_f16 v79, -0.5, v23, v0
	v_fma_f16 v80, -0.5, v27, v14
	v_fma_f16 v2, -0.5, v31, v2
	v_fmac_f16_e32 v29, -0.5, v89
	v_sub_f16_e32 v93, v99, v101
	v_add_f16_e32 v94, v85, v99
	v_sub_f16_e32 v12, v12, v17
	v_fmac_f16_e32 v3, -0.5, v92
	v_fmac_f16_e32 v85, -0.5, v95
	v_add_f16_e32 v96, v4, v13
	v_sub_f16_e32 v99, v103, v105
	v_add_f16_e32 v100, v86, v103
	v_sub_f16_e32 v13, v13, v10
	v_fma_f16 v4, -0.5, v98, v4
	v_fmac_f16_e32 v86, -0.5, v102
	v_add_f16_e32 v103, v5, v8
	v_sub_f16_e32 v8, v8, v11
	v_add_f16_e32 v110, v6, v9
	v_sub_f16_e32 v9, v9, v21
	v_add_f16_e32 v16, v30, v16
	v_add_f16_e32 v23, v81, v97
	;; [unrolled: 1-line block ×3, first 2 shown]
	v_fmac_f16_e32 v5, -0.5, v104
	v_fmac_f16_e32 v88, -0.5, v107
	;; [unrolled: 1-line block ×4, first 2 shown]
	v_fmamk_f16 v17, v24, 0x3aee, v79
	v_fmac_f16_e32 v79, 0xbaee, v24
	v_fmamk_f16 v81, v28, 0xbaee, v80
	v_fmac_f16_e32 v80, 0x3aee, v28
	v_fmamk_f16 v24, v87, 0x3aee, v2
	v_fmamk_f16 v28, v7, 0xbaee, v29
	v_fmac_f16_e32 v2, 0xbaee, v87
	v_fmac_f16_e32 v29, 0x3aee, v7
	v_add_f16_e32 v30, v94, v101
	v_fmamk_f16 v7, v93, 0x3aee, v3
	v_fmamk_f16 v87, v12, 0xbaee, v85
	v_fmac_f16_e32 v3, 0xbaee, v93
	v_fmac_f16_e32 v85, 0x3aee, v12
	v_add_f16_e32 v10, v96, v10
	v_add_f16_e32 v31, v100, v105
	v_fmamk_f16 v12, v99, 0x3aee, v4
	v_fmamk_f16 v92, v13, 0xbaee, v86
	v_add_f16_e32 v11, v103, v11
	v_add_f16_e32 v89, v108, v109
	;; [unrolled: 1-line block ×4, first 2 shown]
	v_fmac_f16_e32 v4, 0xbaee, v99
	v_fmac_f16_e32 v86, 0x3aee, v13
	v_fmamk_f16 v13, v106, 0x3aee, v5
	v_fmac_f16_e32 v5, 0xbaee, v106
	v_fmamk_f16 v93, v8, 0xbaee, v88
	;; [unrolled: 2-line block ×4, first 2 shown]
	v_fmac_f16_e32 v91, 0x3aee, v9
	v_pack_b32_f16 v9, v16, v23
	v_pack_b32_f16 v23, v24, v28
	;; [unrolled: 1-line block ×15, first 2 shown]
	ds_store_2addr_b32 v77, v9, v23 offset1:16
	ds_store_b32 v77, v2 offset:128
	ds_store_2addr_b32 v78, v16, v7 offset1:16
	ds_store_b32 v78, v3 offset:128
	;; [unrolled: 2-line block ×5, first 2 shown]
	s_and_saveexec_b32 s0, vcc_lo
	s_cbranch_execz .LBB0_5
; %bb.4:
	v_add_f16_e32 v2, v14, v26
	v_add_f16_e32 v0, v0, v1
	v_add_nc_u32_e32 v3, 0x800, v56
	s_delay_alu instid0(VALU_DEP_3) | instskip(NEXT) | instid1(VALU_DEP_3)
	v_add_f16_e32 v1, v2, v25
	v_add_f16_e32 v0, v0, v22
	v_perm_b32 v2, v81, v17, 0x5040100
	s_delay_alu instid0(VALU_DEP_2)
	v_pack_b32_f16 v0, v0, v1
	v_perm_b32 v1, v80, v79, 0x5040100
	ds_store_2addr_b32 v3, v0, v2 offset0:208 offset1:224
	ds_store_b32 v56, v1 offset:3008
.LBB0_5:
	s_wait_alu 0xfffe
	s_or_b32 exec_lo, exec_lo, s0
	v_mad_co_u64_u32 v[12:13], null, v59, 60, s[10:11]
	global_wb scope:SCOPE_SE
	s_wait_dscnt 0x0
	s_barrier_signal -1
	s_barrier_wait -1
	global_inv scope:SCOPE_SE
	v_add_nc_u32_e32 v24, 0x400, v56
	v_add_nc_u32_e32 v16, 0x600, v56
	s_clause 0x3
	global_load_b128 v[4:7], v[12:13], off offset:128
	global_load_b128 v[8:11], v[12:13], off offset:144
	;; [unrolled: 1-line block ×3, first 2 shown]
	global_load_b96 v[12:14], v[12:13], off offset:176
	v_add_nc_u32_e32 v25, 0x800, v56
	ds_load_2addr_b32 v[21:22], v56 offset1:48
	ds_load_2addr_b32 v[26:27], v56 offset0:96 offset1:144
	ds_load_2addr_b32 v[28:29], v56 offset0:192 offset1:240
	;; [unrolled: 1-line block ×7, first 2 shown]
	v_lshlrev_b32_e32 v23, 2, v59
	s_add_nc_u64 s[0:1], s[8:9], 0xc00
	s_wait_dscnt 0x3
	v_lshrrev_b32_e32 v116, 16, v100
	v_lshrrev_b32_e32 v109, 16, v22
	;; [unrolled: 1-line block ×9, first 2 shown]
	s_wait_dscnt 0x2
	v_lshrrev_b32_e32 v118, 16, v102
	v_lshrrev_b32_e32 v119, 16, v103
	s_wait_dscnt 0x1
	v_lshrrev_b32_e32 v120, 16, v104
	v_lshrrev_b32_e32 v121, 16, v105
	;; [unrolled: 3-line block ×3, first 2 shown]
	v_lshrrev_b32_e32 v108, 16, v21
	s_wait_loadcnt 0x3
	v_lshrrev_b32_e32 v99, 16, v4
	v_lshrrev_b32_e32 v98, 16, v5
	v_lshrrev_b32_e32 v97, 16, v6
	v_lshrrev_b32_e32 v96, 16, v7
	s_wait_loadcnt 0x2
	v_lshrrev_b32_e32 v95, 16, v8
	v_lshrrev_b32_e32 v94, 16, v9
	v_lshrrev_b32_e32 v93, 16, v10
	v_lshrrev_b32_e32 v92, 16, v11
	s_wait_loadcnt 0x1
	v_lshrrev_b32_e32 v91, 16, v0
	v_lshrrev_b32_e32 v90, 16, v1
	v_lshrrev_b32_e32 v89, 16, v2
	v_lshrrev_b32_e32 v88, 16, v3
	s_wait_loadcnt 0x0
	v_lshrrev_b32_e32 v87, 16, v12
	v_lshrrev_b32_e32 v86, 16, v13
	v_lshrrev_b32_e32 v85, 16, v14
	v_mul_f16_e32 v124, v109, v99
	v_mul_f16_e32 v125, v22, v99
	;; [unrolled: 1-line block ×4, first 2 shown]
	v_mul_f16_e64 v128, v111, v97
	v_mul_f16_e64 v129, v27, v97
	;; [unrolled: 1-line block ×26, first 2 shown]
	v_fma_f16 v22, v22, v4, -v124
	v_fmac_f16_e32 v125, v109, v4
	v_fma_f16 v26, v26, v5, -v126
	v_fmac_f16_e32 v127, v110, v5
	v_fma_f16 v27, v27, v6, -v128
	v_fmac_f16_e64 v129, v111, v6
	v_fma_f16 v28, v28, v7, -v130
	v_fmac_f16_e64 v131, v112, v7
	;; [unrolled: 2-line block ×13, first 2 shown]
	v_sub_f16_e32 v100, v21, v100
	v_sub_f16_e64 v109, v108, v139
	v_sub_f16_e32 v104, v28, v104
	v_sub_f16_e64 v110, v131, v147
	;; [unrolled: 2-line block ×8, first 2 shown]
	v_fma_f16 v108, v108, 2.0, -v109
	v_fma_f16 v28, v28, 2.0, -v104
	;; [unrolled: 1-line block ×12, first 2 shown]
	v_sub_f16_e32 v110, v100, v110
	v_add_f16_e32 v104, v109, v104
	v_sub_f16_e32 v112, v102, v112
	v_add_f16_e32 v106, v111, v106
	;; [unrolled: 2-line block ×4, first 2 shown]
	v_fma_f16 v21, v21, 2.0, -v100
	v_fma_f16 v26, v26, 2.0, -v102
	;; [unrolled: 1-line block ×4, first 2 shown]
	v_sub_f16_e32 v117, v108, v117
	v_fma_f16 v100, v100, 2.0, -v110
	v_fma_f16 v109, v109, 2.0, -v104
	v_sub_f16_e32 v119, v118, v119
	v_fma_f16 v102, v102, 2.0, -v112
	v_fma_f16 v111, v111, 2.0, -v106
	;; [unrolled: 3-line block ×4, first 2 shown]
	v_fmamk_f16 v124, v112, 0x39a8, v110
	v_fmamk_f16 v125, v106, 0x39a8, v104
	v_sub_f16_e32 v28, v21, v28
	v_sub_f16_e32 v30, v26, v30
	;; [unrolled: 1-line block ×4, first 2 shown]
	v_fmamk_f16 v126, v116, 0x39a8, v114
	v_fma_f16 v108, v108, 2.0, -v117
	v_fma_f16 v118, v118, 2.0, -v119
	;; [unrolled: 1-line block ×4, first 2 shown]
	v_fma_f16 v128, 0xb9a8, v102, v100
	v_fma_f16 v129, 0xb9a8, v111, v109
	v_fmac_f16_e32 v124, 0xb9a8, v106
	v_fmac_f16_e32 v125, 0x39a8, v112
	v_fmamk_f16 v106, v103, 0xb9a8, v101
	v_fmamk_f16 v112, v115, 0xb9a8, v113
	;; [unrolled: 1-line block ×3, first 2 shown]
	v_fma_f16 v21, v21, 2.0, -v28
	v_fma_f16 v26, v26, 2.0, -v30
	;; [unrolled: 1-line block ×4, first 2 shown]
	v_sub_f16_e32 v119, v28, v119
	v_add_f16_e32 v30, v117, v30
	v_sub_f16_e32 v123, v29, v123
	v_add_f16_e32 v31, v121, v31
	v_fmac_f16_e32 v126, 0xb9a8, v107
	v_sub_f16_e32 v107, v108, v118
	v_fmac_f16_e64 v128, 0xb9a8, v111
	v_fmac_f16_e64 v129, 0x39a8, v102
	v_sub_f16_e32 v111, v120, v122
	v_fmac_f16_e32 v106, 0xb9a8, v115
	v_fmac_f16_e32 v112, 0x39a8, v103
	v_fmac_f16_e32 v127, 0x39a8, v116
	v_sub_f16_e32 v26, v21, v26
	v_sub_f16_e32 v27, v22, v27
	v_fmamk_f16 v115, v123, 0x39a8, v119
	v_fmamk_f16 v116, v31, 0x39a8, v30
	v_fma_f16 v108, v108, 2.0, -v107
	v_fma_f16 v100, v100, 2.0, -v128
	v_fma_f16 v109, v109, 2.0, -v129
	v_fma_f16 v120, v120, 2.0, -v111
	v_fma_f16 v101, v101, 2.0, -v106
	v_fma_f16 v113, v113, 2.0, -v112
	v_fma_f16 v28, v28, 2.0, -v119
	v_fma_f16 v102, v117, 2.0, -v30
	v_fma_f16 v110, v110, 2.0, -v124
	v_fma_f16 v104, v104, 2.0, -v125
	v_fma_f16 v29, v29, 2.0, -v123
	v_fma_f16 v103, v121, 2.0, -v31
	v_fma_f16 v114, v114, 2.0, -v126
	v_fma_f16 v105, v105, 2.0, -v127
	v_fma_f16 v21, v21, 2.0, -v26
	v_fma_f16 v22, v22, 2.0, -v27
	v_fmac_f16_e32 v115, 0xb9a8, v31
	v_fmac_f16_e32 v116, 0x39a8, v123
	v_sub_f16_e32 v31, v108, v120
	v_fmamk_f16 v120, v101, 0xbb64, v100
	v_fmamk_f16 v123, v113, 0xbb64, v109
	v_fmamk_f16 v121, v29, 0xb9a8, v28
	v_fmamk_f16 v122, v103, 0xb9a8, v102
	v_fma_f16 v130, 0xb61f, v114, v110
	v_fma_f16 v131, 0xb61f, v105, v104
	;; [unrolled: 1-line block ×4, first 2 shown]
	v_fmamk_f16 v117, v126, 0x3b64, v124
	v_fmamk_f16 v118, v127, 0x3b64, v125
	v_sub_f16_e32 v22, v21, v22
	v_fmac_f16_e32 v120, 0xb61f, v113
	v_fmac_f16_e32 v123, 0x361f, v101
	;; [unrolled: 1-line block ×4, first 2 shown]
	v_fmac_f16_e64 v130, 0xbb64, v105
	v_fmac_f16_e64 v131, 0x3b64, v114
	v_sub_f16_e32 v111, v26, v111
	v_add_f16_e32 v27, v107, v27
	v_fmac_f16_e64 v132, 0xbb64, v112
	v_fmac_f16_e64 v133, 0x3b64, v106
	v_fmac_f16_e32 v117, 0xb61f, v127
	v_fmac_f16_e32 v118, 0x361f, v126
	v_fma_f16 v21, v21, 2.0, -v22
	v_fma_f16 v108, v108, 2.0, -v31
	v_pack_b32_f16 v22, v22, v31
	v_fma_f16 v31, v100, 2.0, -v120
	v_fma_f16 v100, v109, 2.0, -v123
	;; [unrolled: 1-line block ×14, first 2 shown]
	v_pack_b32_f16 v21, v21, v108
	v_pack_b32_f16 v31, v31, v100
	;; [unrolled: 1-line block ×15, first 2 shown]
	ds_store_2addr_b32 v56, v21, v31 offset1:48
	ds_store_2addr_b32 v56, v28, v100 offset0:96 offset1:144
	ds_store_2addr_b32 v56, v26, v101 offset0:192 offset1:240
	;; [unrolled: 1-line block ×7, first 2 shown]
	global_wb scope:SCOPE_SE
	s_wait_dscnt 0x0
	s_barrier_signal -1
	s_barrier_wait -1
	global_inv scope:SCOPE_SE
	s_clause 0xf
	global_load_b32 v21, v[18:19], off offset:3072
	global_load_b32 v22, v23, s[0:1] offset:192
	global_load_b32 v104, v23, s[0:1] offset:384
	;; [unrolled: 1-line block ×15, first 2 shown]
	ds_load_2addr_b32 v[18:19], v56 offset1:48
	s_wait_dscnt 0x0
	v_lshrrev_b32_e32 v26, 16, v18
	v_lshrrev_b32_e32 v28, 16, v19
	s_wait_loadcnt 0xf
	v_lshrrev_b32_e32 v27, 16, v21
	s_wait_loadcnt 0xe
	;; [unrolled: 2-line block ×5, first 2 shown]
	v_lshrrev_b32_e32 v119, 16, v106
	v_mul_f16_e32 v30, v26, v27
	v_mul_f16_e32 v27, v18, v27
	;; [unrolled: 1-line block ×4, first 2 shown]
	s_wait_loadcnt 0xa
	v_lshrrev_b32_e32 v120, 16, v107
	v_fma_f16 v18, v18, v21, -v30
	v_fmac_f16_e32 v27, v26, v21
	v_fma_f16 v19, v19, v22, -v31
	v_fmac_f16_e32 v29, v28, v22
	s_wait_loadcnt 0x9
	v_lshrrev_b32_e32 v121, 16, v108
	s_wait_loadcnt 0x8
	v_lshrrev_b32_e32 v122, 16, v109
	v_pack_b32_f16 v18, v18, v27
	s_wait_loadcnt 0x7
	v_lshrrev_b32_e32 v123, 16, v110
	v_pack_b32_f16 v19, v19, v29
	s_wait_loadcnt 0x6
	v_lshrrev_b32_e32 v124, 16, v111
	s_wait_loadcnt 0x5
	v_lshrrev_b32_e32 v125, 16, v112
	;; [unrolled: 2-line block ×4, first 2 shown]
	ds_store_2addr_b32 v56, v18, v19 offset1:48
	ds_load_2addr_b32 v[18:19], v56 offset0:96 offset1:144
	ds_load_2addr_b32 v[21:22], v56 offset0:192 offset1:240
	ds_load_2addr_b32 v[26:27], v24 offset0:32 offset1:80
	ds_load_2addr_b32 v[28:29], v24 offset0:128 offset1:176
	ds_load_2addr_b32 v[30:31], v16 offset0:96 offset1:144
	ds_load_2addr_b32 v[100:101], v25 offset0:64 offset1:112
	ds_load_2addr_b32 v[102:103], v25 offset0:160 offset1:208
	s_wait_loadcnt 0x2
	v_lshrrev_b32_e32 v128, 16, v115
	s_wait_loadcnt 0x1
	v_lshrrev_b32_e32 v129, 16, v116
	;; [unrolled: 2-line block ×3, first 2 shown]
	s_wait_dscnt 0x6
	v_lshrrev_b32_e32 v131, 16, v18
	v_lshrrev_b32_e32 v133, 16, v19
	s_wait_dscnt 0x5
	v_lshrrev_b32_e32 v135, 16, v21
	v_lshrrev_b32_e32 v137, 16, v22
	;; [unrolled: 3-line block ×6, first 2 shown]
	s_wait_dscnt 0x0
	v_lshrrev_b32_e32 v155, 16, v102
	v_mul_f16_e64 v132, v18, v117
	v_mul_f16_e64 v134, v19, v118
	v_lshrrev_b32_e32 v157, 16, v103
	v_mul_f16_e64 v117, v131, v117
	v_mul_f16_e64 v118, v133, v118
	;; [unrolled: 1-line block ×25, first 2 shown]
	v_fmac_f16_e64 v132, v131, v104
	v_fmac_f16_e64 v134, v133, v105
	v_mul_f16_e64 v130, v157, v130
	v_fma_f16 v18, v18, v104, -v117
	v_fma_f16 v19, v19, v105, -v118
	v_fmac_f16_e64 v136, v135, v106
	v_fmac_f16_e64 v138, v137, v107
	v_fma_f16 v21, v21, v106, -v119
	v_fma_f16 v22, v22, v107, -v120
	v_fmac_f16_e64 v140, v139, v108
	v_fmac_f16_e64 v142, v141, v109
	;; [unrolled: 4-line block ×4, first 2 shown]
	v_fmac_f16_e64 v152, v151, v114
	v_fmac_f16_e64 v154, v153, v115
	;; [unrolled: 1-line block ×3, first 2 shown]
	v_fma_f16 v30, v30, v112, -v125
	v_fma_f16 v31, v31, v113, -v126
	;; [unrolled: 1-line block ×5, first 2 shown]
	v_fmac_f16_e64 v158, v157, v23
	v_fma_f16 v23, v103, v23, -v130
	v_pack_b32_f16 v18, v18, v132
	v_pack_b32_f16 v19, v19, v134
	;; [unrolled: 1-line block ×14, first 2 shown]
	ds_store_2addr_b32 v56, v18, v19 offset0:96 offset1:144
	ds_store_2addr_b32 v56, v21, v22 offset0:192 offset1:240
	;; [unrolled: 1-line block ×7, first 2 shown]
	global_wb scope:SCOPE_SE
	s_wait_dscnt 0x0
	s_barrier_signal -1
	s_barrier_wait -1
	global_inv scope:SCOPE_SE
	ds_load_2addr_b32 v[18:19], v56 offset1:48
	ds_load_2addr_b32 v[21:22], v56 offset0:96 offset1:144
	ds_load_2addr_b32 v[26:27], v56 offset0:192 offset1:240
	ds_load_2addr_b32 v[28:29], v24 offset0:32 offset1:80
	ds_load_2addr_b32 v[30:31], v24 offset0:128 offset1:176
	ds_load_2addr_b32 v[100:101], v25 offset0:64 offset1:112
	ds_load_2addr_b32 v[102:103], v16 offset0:96 offset1:144
	ds_load_2addr_b32 v[104:105], v25 offset0:160 offset1:208
	global_wb scope:SCOPE_SE
	s_wait_dscnt 0x0
	s_barrier_signal -1
	s_barrier_wait -1
	global_inv scope:SCOPE_SE
	v_pk_add_f16 v16, v18, v30 neg_lo:[0,1] neg_hi:[0,1]
	v_pk_add_f16 v23, v26, v100 neg_lo:[0,1] neg_hi:[0,1]
	;; [unrolled: 1-line block ×8, first 2 shown]
	v_pk_fma_f16 v18, v18, 2.0, v16 op_sel_hi:[1,0,1] neg_lo:[0,0,1] neg_hi:[0,0,1]
	v_pk_fma_f16 v26, v26, 2.0, v23 op_sel_hi:[1,0,1] neg_lo:[0,0,1] neg_hi:[0,0,1]
	;; [unrolled: 1-line block ×8, first 2 shown]
	v_lshrrev_b32_e32 v104, 16, v23
	v_lshrrev_b32_e32 v105, 16, v16
	;; [unrolled: 1-line block ×8, first 2 shown]
	v_pk_add_f16 v26, v18, v26 neg_lo:[0,1] neg_hi:[0,1]
	v_add_f16_e32 v104, v16, v104
	v_sub_f16_e32 v23, v105, v23
	v_pk_add_f16 v28, v21, v28 neg_lo:[0,1] neg_hi:[0,1]
	v_add_f16_e32 v106, v30, v106
	v_sub_f16_e32 v100, v107, v100
	;; [unrolled: 3-line block ×4, first 2 shown]
	v_pk_fma_f16 v18, v18, 2.0, v26 op_sel_hi:[1,0,1] neg_lo:[0,0,1] neg_hi:[0,0,1]
	v_fma_f16 v112, v16, 2.0, -v104
	v_fma_f16 v105, v105, 2.0, -v23
	v_pk_fma_f16 v16, v21, 2.0, v28 op_sel_hi:[1,0,1] neg_lo:[0,0,1] neg_hi:[0,0,1]
	v_fma_f16 v21, v30, 2.0, -v106
	v_fma_f16 v30, v107, 2.0, -v100
	;; [unrolled: 3-line block ×4, first 2 shown]
	v_fmamk_f16 v115, v100, 0x39a8, v23
	v_lshrrev_b32_e32 v111, 16, v28
	v_lshrrev_b32_e32 v113, 16, v26
	v_fmamk_f16 v114, v106, 0x39a8, v104
	v_lshrrev_b32_e32 v116, 16, v29
	v_lshrrev_b32_e32 v117, 16, v27
	v_fmamk_f16 v118, v110, 0x39a8, v108
	v_fmamk_f16 v119, v103, 0x39a8, v101
	v_pk_add_f16 v120, v18, v16 neg_lo:[0,1] neg_hi:[0,1]
	v_fmamk_f16 v121, v21, 0xb9a8, v112
	v_fmamk_f16 v122, v30, 0xb9a8, v105
	v_fmac_f16_e32 v115, 0xb9a8, v106
	v_pk_add_f16 v22, v19, v22 neg_lo:[0,1] neg_hi:[0,1]
	v_fmamk_f16 v106, v102, 0xb9a8, v31
	v_fmamk_f16 v123, v109, 0xb9a8, v107
	v_add_f16_e32 v111, v26, v111
	v_sub_f16_e32 v28, v113, v28
	v_fmac_f16_e32 v114, 0x39a8, v100
	v_add_f16_e32 v116, v27, v116
	v_sub_f16_e32 v29, v117, v29
	v_fmac_f16_e32 v118, 0x39a8, v103
	v_fmac_f16_e32 v119, 0xb9a8, v110
	v_pk_fma_f16 v18, v18, 2.0, v120 op_sel_hi:[1,0,1] neg_lo:[0,0,1] neg_hi:[0,0,1]
	v_fmac_f16_e32 v121, 0x39a8, v30
	v_fmac_f16_e32 v122, 0xb9a8, v21
	v_pk_fma_f16 v19, v19, 2.0, v22 op_sel_hi:[1,0,1] neg_lo:[0,0,1] neg_hi:[0,0,1]
	v_fmac_f16_e32 v106, 0x39a8, v109
	v_fmac_f16_e32 v123, 0xb9a8, v102
	v_fma_f16 v21, v26, 2.0, -v111
	v_fma_f16 v30, v113, 2.0, -v28
	;; [unrolled: 1-line block ×8, first 2 shown]
	v_lshrrev_b32_e32 v101, 16, v22
	v_fmamk_f16 v110, v116, 0x39a8, v111
	v_fmamk_f16 v113, v29, 0x39a8, v28
	v_fma_f16 v117, v112, 2.0, -v121
	v_fma_f16 v124, v105, 2.0, -v122
	;; [unrolled: 1-line block ×4, first 2 shown]
	v_pk_add_f16 v26, v18, v19 neg_lo:[0,1] neg_hi:[0,1]
	v_lshrrev_b32_e32 v109, 16, v120
	v_fmamk_f16 v16, v118, 0x3b64, v114
	v_fmamk_f16 v100, v119, 0x3b64, v115
	v_fmamk_f16 v19, v27, 0xb9a8, v21
	v_fmamk_f16 v125, v102, 0xb9a8, v30
	v_fmamk_f16 v126, v104, 0xb61f, v103
	v_fmamk_f16 v127, v108, 0xb61f, v23
	v_add_f16_e32 v105, v120, v101
	v_fmac_f16_e32 v110, 0x39a8, v29
	v_fmac_f16_e32 v113, 0xb9a8, v116
	v_pk_fma_f16 v101, v18, 2.0, v26 op_sel_hi:[1,0,1] neg_lo:[0,0,1] neg_hi:[0,0,1]
	v_fmamk_f16 v18, v31, 0xbb64, v117
	v_fmamk_f16 v116, v112, 0xbb64, v124
	v_fma_f16 v128, 0x361f, v106, v121
	v_fma_f16 v129, 0x361f, v123, v122
	v_sub_f16_e32 v22, v109, v22
	v_fmac_f16_e32 v16, 0x361f, v119
	v_fmac_f16_e32 v100, 0xb61f, v118
	;; [unrolled: 1-line block ×6, first 2 shown]
	v_fma_f16 v102, v111, 2.0, -v110
	v_fma_f16 v28, v28, 2.0, -v113
	v_fmac_f16_e32 v18, 0x361f, v112
	v_fmac_f16_e32 v116, 0xb61f, v31
	v_fmac_f16_e64 v128, 0x3b64, v123
	v_fmac_f16_e64 v129, 0xbb64, v106
	v_fma_f16 v27, v120, 2.0, -v105
	v_fma_f16 v29, v109, 2.0, -v22
	;; [unrolled: 1-line block ×4, first 2 shown]
	v_pack_b32_f16 v105, v105, v22
	v_fma_f16 v21, v21, 2.0, -v19
	v_fma_f16 v22, v30, 2.0, -v125
	;; [unrolled: 1-line block ×4, first 2 shown]
	v_pack_b32_f16 v111, v102, v28
	v_pack_b32_f16 v28, v19, v125
	v_fma_f16 v19, v117, 2.0, -v18
	v_fma_f16 v102, v124, 2.0, -v116
	v_pack_b32_f16 v107, v110, v113
	v_fma_f16 v31, v121, 2.0, -v128
	v_fma_f16 v110, v122, 2.0, -v129
	v_pack_b32_f16 v109, v27, v29
	v_pack_b32_f16 v29, v126, v127
	v_pack_b32_f16 v27, v18, v116
	v_pack_b32_f16 v108, v16, v100
	v_pack_b32_f16 v112, v104, v106
	v_pack_b32_f16 v106, v128, v129
	v_pack_b32_f16 v104, v30, v23
	v_pack_b32_f16 v103, v21, v22
	v_pack_b32_f16 v102, v19, v102
	v_pack_b32_f16 v110, v31, v110
	ds_store_b128 v20, v[26:29] offset:32
	ds_store_b128 v20, v[105:108] offset:48
	ds_store_b128 v20, v[101:104]
	ds_store_b128 v20, v[109:112] offset:16
	global_wb scope:SCOPE_SE
	s_wait_dscnt 0x0
	s_barrier_signal -1
	s_barrier_wait -1
	global_inv scope:SCOPE_SE
	ds_load_2addr_b32 v[22:23], v56 offset1:48
	ds_load_2addr_b32 v[30:31], v25 offset1:48
	ds_load_2addr_b32 v[28:29], v24 offset0:48 offset1:96
	ds_load_2addr_b32 v[20:21], v56 offset0:96 offset1:144
	;; [unrolled: 1-line block ×4, first 2 shown]
	ds_load_2addr_stride64_b32 v[18:19], v56 offset0:3 offset1:4
	ds_load_b32 v101, v56 offset:2816
	s_and_saveexec_b32 s0, vcc_lo
	s_cbranch_execz .LBB0_7
; %bb.6:
	v_add_nc_u32_e32 v16, 0xc0, v56
	ds_load_2addr_stride64_b32 v[16:17], v16 offset0:3 offset1:7
	ds_load_b32 v79, v56 offset:3008
	s_wait_dscnt 0x1
	v_lshrrev_b32_e32 v100, 16, v16
	v_lshrrev_b32_e32 v81, 16, v17
	s_wait_dscnt 0x0
	v_lshrrev_b32_e32 v80, 16, v79
.LBB0_7:
	s_wait_alu 0xfffe
	s_or_b32 exec_lo, exec_lo, s0
	s_wait_dscnt 0x1
	v_lshrrev_b32_e32 v103, 16, v19
	v_lshrrev_b32_e32 v104, 16, v30
	;; [unrolled: 1-line block ×3, first 2 shown]
	v_mul_f16_e32 v117, v84, v19
	v_lshrrev_b32_e32 v107, 16, v31
	v_mul_f16_e32 v115, v84, v103
	v_mul_f16_e32 v119, v83, v104
	v_lshrrev_b32_e32 v109, 16, v29
	v_fma_f16 v103, v73, v103, -v117
	v_mul_f16_e32 v117, v84, v106
	v_fmac_f16_e32 v115, v73, v19
	v_mul_f16_e32 v19, v83, v30
	v_fmac_f16_e32 v119, v82, v30
	v_mul_f16_e32 v30, v84, v28
	v_lshrrev_b32_e32 v110, 16, v26
	v_fmac_f16_e32 v117, v73, v28
	v_mul_f16_e32 v28, v83, v31
	v_fma_f16 v19, v82, v104, -v19
	v_mul_f16_e32 v104, v83, v107
	v_fma_f16 v30, v73, v106, -v30
	;; [unrolled: 2-line block ×3, first 2 shown]
	v_mul_f16_e32 v107, v83, v110
	v_lshrrev_b32_e32 v112, 16, v24
	v_lshrrev_b32_e32 v113, 16, v27
	v_fmac_f16_e32 v104, v82, v31
	v_mul_f16_e32 v31, v84, v29
	v_fmac_f16_e32 v106, v73, v29
	v_mul_f16_e32 v29, v83, v26
	v_lshrrev_b32_e32 v116, 16, v25
	v_fmac_f16_e32 v107, v82, v26
	v_mul_f16_e32 v26, v84, v24
	v_fma_f16 v31, v73, v109, -v31
	v_mul_f16_e32 v109, v84, v112
	v_fma_f16 v29, v82, v110, -v29
	v_mul_f16_e32 v110, v83, v113
	s_wait_dscnt 0x0
	v_lshrrev_b32_e32 v118, 16, v101
	v_fma_f16 v26, v73, v112, -v26
	v_mul_f16_e32 v112, v84, v116
	v_fmac_f16_e32 v109, v73, v24
	v_mul_f16_e32 v24, v83, v27
	v_fmac_f16_e32 v110, v82, v27
	v_mul_f16_e32 v27, v84, v25
	v_mul_f16_e32 v84, v83, v118
	v_fmac_f16_e32 v112, v73, v25
	v_mul_f16_e32 v25, v83, v101
	v_lshrrev_b32_e32 v102, 16, v22
	v_fma_f16 v27, v73, v116, -v27
	v_add_f16_e32 v73, v115, v119
	v_fma_f16 v24, v82, v113, -v24
	v_fmac_f16_e32 v84, v82, v101
	v_fma_f16 v25, v82, v118, -v25
	v_add_f16_e32 v82, v103, v19
	v_add_f16_e32 v83, v22, v115
	v_fma_f16 v22, -0.5, v73, v22
	v_sub_f16_e32 v73, v103, v19
	v_add_f16_e32 v101, v102, v103
	v_fmac_f16_e32 v102, -0.5, v82
	v_sub_f16_e32 v82, v115, v119
	v_lshrrev_b32_e32 v105, 16, v23
	v_fmamk_f16 v103, v73, 0xbaee, v22
	v_fmac_f16_e32 v22, 0x3aee, v73
	v_add_f16_e32 v73, v117, v104
	v_add_f16_e32 v19, v101, v19
	v_fmamk_f16 v101, v82, 0x3aee, v102
	v_fmac_f16_e32 v102, 0xbaee, v82
	v_add_f16_e32 v82, v30, v28
	v_add_f16_e32 v113, v23, v117
	v_fmac_f16_e32 v23, -0.5, v73
	v_sub_f16_e32 v73, v30, v28
	v_add_f16_e32 v30, v105, v30
	v_fmac_f16_e32 v105, -0.5, v82
	v_sub_f16_e32 v82, v117, v104
	v_lshrrev_b32_e32 v108, 16, v20
	v_add_f16_e32 v113, v113, v104
	v_add_f16_e32 v28, v30, v28
	;; [unrolled: 1-line block ×3, first 2 shown]
	v_fmamk_f16 v104, v73, 0xbaee, v23
	v_fmac_f16_e32 v23, 0x3aee, v73
	v_fmamk_f16 v73, v82, 0x3aee, v105
	v_fmac_f16_e32 v105, 0xbaee, v82
	v_add_f16_e32 v82, v31, v29
	v_add_f16_e32 v115, v20, v106
	v_fma_f16 v20, -0.5, v30, v20
	v_sub_f16_e32 v30, v31, v29
	v_add_f16_e32 v31, v108, v31
	v_fmac_f16_e32 v108, -0.5, v82
	v_sub_f16_e32 v82, v106, v107
	v_lshrrev_b32_e32 v111, 16, v21
	v_fmamk_f16 v106, v30, 0xbaee, v20
	v_fmac_f16_e32 v20, 0x3aee, v30
	v_add_f16_e32 v30, v109, v110
	v_add_f16_e32 v29, v31, v29
	v_fmamk_f16 v31, v82, 0x3aee, v108
	v_fmac_f16_e32 v108, 0xbaee, v82
	v_add_f16_e32 v82, v26, v24
	v_add_f16_e32 v115, v115, v107
	;; [unrolled: 1-line block ×3, first 2 shown]
	v_fmac_f16_e32 v21, -0.5, v30
	v_sub_f16_e32 v30, v26, v24
	v_add_f16_e32 v26, v111, v26
	v_fmac_f16_e32 v111, -0.5, v82
	v_sub_f16_e32 v82, v109, v110
	v_lshrrev_b32_e32 v114, 16, v18
	v_fmamk_f16 v109, v30, 0xbaee, v21
	v_add_f16_e32 v24, v26, v24
	v_add_f16_e32 v26, v112, v84
	v_fmac_f16_e32 v21, 0x3aee, v30
	v_fmamk_f16 v30, v82, 0x3aee, v111
	v_fmac_f16_e32 v111, 0xbaee, v82
	v_add_f16_e32 v82, v27, v25
	v_add_f16_e32 v83, v83, v119
	;; [unrolled: 1-line block ×4, first 2 shown]
	v_fmac_f16_e32 v18, -0.5, v26
	v_sub_f16_e32 v26, v27, v25
	v_add_f16_e32 v27, v114, v27
	v_fmac_f16_e32 v114, -0.5, v82
	v_sub_f16_e32 v82, v112, v84
	v_pack_b32_f16 v19, v83, v19
	v_pack_b32_f16 v22, v22, v102
	v_add_f16_e32 v25, v27, v25
	v_pack_b32_f16 v27, v103, v101
	v_pack_b32_f16 v28, v113, v28
	v_pack_b32_f16 v73, v104, v73
	v_add_f16_e32 v84, v110, v84
	v_fmamk_f16 v110, v26, 0xbaee, v18
	v_fmac_f16_e32 v18, 0x3aee, v26
	v_fmamk_f16 v26, v82, 0x3aee, v114
	v_pack_b32_f16 v23, v23, v105
	v_fmac_f16_e32 v114, 0xbaee, v82
	v_pack_b32_f16 v29, v115, v29
	v_pack_b32_f16 v31, v106, v31
	global_wb scope:SCOPE_SE
	s_barrier_signal -1
	s_barrier_wait -1
	global_inv scope:SCOPE_SE
	ds_store_2addr_b32 v77, v19, v27 offset1:16
	ds_store_b32 v77, v22 offset:128
	ds_store_2addr_b32 v78, v28, v73 offset1:16
	ds_store_b32 v78, v23 offset:128
	ds_store_2addr_b32 v76, v29, v31 offset1:16
	v_pack_b32_f16 v19, v20, v108
	v_pack_b32_f16 v20, v107, v24
	;; [unrolled: 1-line block ×7, first 2 shown]
	ds_store_b32 v76, v19 offset:128
	ds_store_2addr_b32 v75, v20, v22 offset1:16
	ds_store_b32 v75, v21 offset:128
	ds_store_2addr_b32 v74, v23, v24 offset1:16
	ds_store_b32 v74, v18 offset:128
	s_and_saveexec_b32 s0, vcc_lo
	s_cbranch_execz .LBB0_9
; %bb.8:
	v_mul_f16_e32 v18, v72, v79
	v_mul_f16_e32 v19, v71, v17
	;; [unrolled: 1-line block ×4, first 2 shown]
	s_delay_alu instid0(VALU_DEP_4) | instskip(NEXT) | instid1(VALU_DEP_4)
	v_fma_f16 v18, v70, v80, -v18
	v_fma_f16 v19, v69, v81, -v19
	s_delay_alu instid0(VALU_DEP_4) | instskip(NEXT) | instid1(VALU_DEP_4)
	v_fmac_f16_e32 v20, v69, v17
	v_fmac_f16_e32 v21, v70, v79
	s_delay_alu instid0(VALU_DEP_3) | instskip(SKIP_1) | instid1(VALU_DEP_3)
	v_add_f16_e32 v17, v19, v18
	v_add_f16_e32 v22, v19, v100
	;; [unrolled: 1-line block ×4, first 2 shown]
	v_sub_f16_e32 v20, v20, v21
	v_fmac_f16_e32 v100, -0.5, v17
	v_sub_f16_e32 v17, v19, v18
	v_fmac_f16_e32 v16, -0.5, v23
	v_add_f16_e32 v18, v18, v22
	v_add_f16_e32 v19, v24, v21
	v_fmamk_f16 v21, v20, 0xbaee, v100
	v_fmac_f16_e32 v100, 0x3aee, v20
	v_fmamk_f16 v20, v17, 0x3aee, v16
	v_fmac_f16_e32 v16, 0xbaee, v17
	v_add_nc_u32_e32 v17, 0x800, v56
	v_pack_b32_f16 v18, v19, v18
	s_delay_alu instid0(VALU_DEP_4) | instskip(NEXT) | instid1(VALU_DEP_4)
	v_pack_b32_f16 v19, v20, v21
	v_pack_b32_f16 v16, v16, v100
	ds_store_2addr_b32 v17, v18, v16 offset0:208 offset1:224
	ds_store_b32 v56, v19 offset:3008
.LBB0_9:
	s_wait_alu 0xfffe
	s_or_b32 exec_lo, exec_lo, s0
	global_wb scope:SCOPE_SE
	s_wait_dscnt 0x0
	s_barrier_signal -1
	s_barrier_wait -1
	global_inv scope:SCOPE_SE
	ds_load_2addr_b32 v[19:20], v56 offset1:48
	ds_load_2addr_b32 v[21:22], v56 offset0:96 offset1:144
	ds_load_2addr_b32 v[23:24], v56 offset0:192 offset1:240
	v_add_nc_u32_e32 v18, 0x400, v56
	v_add_nc_u32_e32 v17, 0x600, v56
	v_add_nc_u32_e32 v16, 0x800, v56
	s_mov_b32 s8, 0x55555555
	s_mov_b32 s9, 0x3f555555
	ds_load_2addr_b32 v[25:26], v18 offset0:32 offset1:80
	ds_load_2addr_b32 v[27:28], v18 offset0:128 offset1:176
	;; [unrolled: 1-line block ×5, first 2 shown]
	s_wait_dscnt 0x6
	v_lshrrev_b32_e32 v74, 16, v21
	v_lshrrev_b32_e32 v73, 16, v20
	;; [unrolled: 1-line block ×3, first 2 shown]
	s_wait_dscnt 0x5
	v_lshrrev_b32_e32 v76, 16, v23
	v_lshrrev_b32_e32 v77, 16, v24
	s_wait_dscnt 0x3
	v_lshrrev_b32_e32 v80, 16, v27
	v_mul_f16_e32 v100, v99, v73
	v_mul_f16_e32 v99, v99, v20
	;; [unrolled: 1-line block ×3, first 2 shown]
	v_lshrrev_b32_e32 v78, 16, v25
	v_lshrrev_b32_e32 v79, 16, v26
	v_fmac_f16_e32 v100, v4, v20
	v_mul_f16_e32 v20, v98, v74
	v_mul_f16_e32 v98, v98, v21
	v_fma_f16 v4, v4, v73, -v99
	v_mul_f16_e32 v73, v97, v22
	v_fmac_f16_e32 v104, v6, v22
	v_fmac_f16_e32 v20, v5, v21
	v_mul_f16_e32 v21, v96, v76
	v_mul_f16_e32 v22, v96, v23
	v_fma_f16 v5, v5, v74, -v98
	v_fma_f16 v6, v6, v75, -v73
	v_mul_f16_e32 v73, v95, v77
	v_mul_f16_e32 v74, v95, v24
	v_fmac_f16_e32 v21, v7, v23
	v_mul_f16_e32 v23, v94, v78
	v_fma_f16 v7, v7, v76, -v22
	v_mul_f16_e32 v22, v94, v25
	v_lshrrev_b32_e32 v81, 16, v28
	v_fmac_f16_e32 v73, v8, v24
	v_fma_f16 v8, v8, v77, -v74
	v_fmac_f16_e32 v23, v9, v25
	v_mul_f16_e32 v24, v93, v79
	v_mul_f16_e32 v25, v93, v26
	;; [unrolled: 1-line block ×3, first 2 shown]
	v_fma_f16 v9, v9, v78, -v22
	v_mul_f16_e32 v22, v92, v27
	s_wait_dscnt 0x2
	v_lshrrev_b32_e32 v82, 16, v29
	v_lshrrev_b32_e32 v83, 16, v30
	v_fmac_f16_e32 v24, v10, v26
	v_fma_f16 v10, v10, v79, -v25
	v_fmac_f16_e32 v74, v11, v27
	v_mul_f16_e32 v25, v91, v81
	v_fma_f16 v11, v11, v80, -v22
	v_mul_f16_e32 v22, v91, v28
	s_wait_dscnt 0x1
	v_lshrrev_b32_e32 v84, 16, v69
	v_lshrrev_b32_e32 v101, 16, v70
	v_mul_f16_e32 v26, v90, v82
	v_mul_f16_e32 v27, v90, v29
	v_fmac_f16_e32 v25, v0, v28
	v_mul_f16_e32 v28, v89, v83
	v_fma_f16 v0, v0, v81, -v22
	v_mul_f16_e32 v22, v89, v30
	s_wait_dscnt 0x0
	v_lshrrev_b32_e32 v102, 16, v71
	v_fmac_f16_e32 v26, v1, v29
	v_fma_f16 v1, v1, v82, -v27
	v_fmac_f16_e32 v28, v2, v30
	v_mul_f16_e32 v27, v88, v84
	v_mul_f16_e32 v29, v88, v69
	;; [unrolled: 1-line block ×3, first 2 shown]
	v_fma_f16 v2, v2, v83, -v22
	v_mul_f16_e32 v22, v87, v70
	v_fmac_f16_e32 v27, v3, v69
	v_fma_f16 v3, v3, v84, -v29
	v_fmac_f16_e32 v30, v12, v70
	v_mul_f16_e32 v29, v86, v102
	v_fma_f16 v12, v12, v101, -v22
	v_mul_f16_e32 v22, v86, v71
	v_lshrrev_b32_e32 v31, 16, v19
	v_lshrrev_b32_e32 v103, 16, v72
	v_fmac_f16_e32 v29, v13, v71
	v_sub_f16_e32 v71, v19, v74
	v_fma_f16 v13, v13, v102, -v22
	v_sub_f16_e32 v11, v31, v11
	v_sub_f16_e32 v22, v21, v27
	;; [unrolled: 1-line block ×7, first 2 shown]
	v_mul_f16_e32 v69, v85, v103
	v_mul_f16_e32 v70, v85, v72
	v_fma_f16 v19, v19, 2.0, -v71
	v_fma_f16 v27, v31, 2.0, -v11
	;; [unrolled: 1-line block ×8, first 2 shown]
	v_add_f16_e32 v3, v71, v3
	v_add_f16_e32 v13, v26, v13
	v_fmac_f16_e32 v69, v14, v72
	v_fma_f16 v14, v14, v103, -v70
	v_sub_f16_e32 v30, v73, v30
	v_sub_f16_e32 v21, v19, v21
	;; [unrolled: 1-line block ×4, first 2 shown]
	v_fma_f16 v71, v71, 2.0, -v3
	v_sub_f16_e32 v9, v5, v9
	v_sub_f16_e32 v29, v1, v29
	v_fma_f16 v26, v26, 2.0, -v13
	v_sub_f16_e32 v25, v100, v25
	v_sub_f16_e32 v0, v4, v0
	;; [unrolled: 1-line block ×3, first 2 shown]
	v_fma_f16 v70, v73, 2.0, -v30
	v_sub_f16_e32 v28, v104, v28
	v_sub_f16_e32 v2, v6, v2
	;; [unrolled: 1-line block ×5, first 2 shown]
	v_fma_f16 v19, v19, 2.0, -v21
	v_fma_f16 v27, v27, 2.0, -v7
	;; [unrolled: 1-line block ×5, first 2 shown]
	v_fmamk_f16 v73, v26, 0xb9a8, v71
	v_fma_f16 v31, v100, 2.0, -v25
	v_fma_f16 v4, v4, 2.0, -v0
	;; [unrolled: 1-line block ×8, first 2 shown]
	v_add_f16_e32 v12, v25, v12
	v_add_f16_e32 v14, v28, v14
	v_sub_f16_e32 v20, v19, v20
	v_sub_f16_e32 v5, v27, v5
	v_fmac_f16_e32 v73, 0x39a8, v1
	v_sub_f16_e32 v70, v31, v70
	v_sub_f16_e32 v8, v4, v8
	;; [unrolled: 1-line block ×5, first 2 shown]
	v_fma_f16 v25, v25, 2.0, -v12
	v_sub_f16_e32 v69, v2, v69
	v_fma_f16 v28, v28, 2.0, -v14
	v_fmamk_f16 v74, v1, 0xb9a8, v11
	v_fma_f16 v1, v19, 2.0, -v20
	v_fma_f16 v19, v27, 2.0, -v5
	;; [unrolled: 1-line block ×3, first 2 shown]
	v_fmamk_f16 v71, v29, 0x39a8, v22
	v_fma_f16 v31, v31, 2.0, -v70
	v_fma_f16 v4, v4, 2.0, -v8
	;; [unrolled: 1-line block ×6, first 2 shown]
	v_fmac_f16_e32 v74, 0xb9a8, v26
	v_fmamk_f16 v26, v13, 0x39a8, v3
	v_fmac_f16_e32 v71, 0xb9a8, v13
	v_fmamk_f16 v13, v28, 0xb9a8, v25
	v_sub_f16_e32 v6, v4, v6
	v_add_f16_e32 v9, v21, v9
	v_fmac_f16_e32 v26, 0x39a8, v29
	v_sub_f16_e32 v29, v31, v72
	v_fmamk_f16 v72, v2, 0xb9a8, v0
	v_fmac_f16_e32 v13, 0x39a8, v2
	v_fma_f16 v4, v4, 2.0, -v6
	v_add_f16_e32 v10, v70, v10
	v_fma_f16 v2, v31, 2.0, -v29
	v_fmac_f16_e32 v72, 0xb9a8, v28
	v_fmamk_f16 v28, v14, 0x39a8, v12
	v_fma_f16 v25, v25, 2.0, -v13
	v_fmamk_f16 v31, v69, 0x39a8, v30
	v_sub_f16_e32 v23, v7, v23
	v_fma_f16 v11, v11, 2.0, -v74
	v_fma_f16 v21, v21, 2.0, -v9
	v_sub_f16_e32 v24, v8, v24
	v_fmac_f16_e32 v28, 0x39a8, v69
	v_fma_f16 v0, v0, 2.0, -v72
	v_fma_f16 v69, v70, 2.0, -v10
	v_fmac_f16_e32 v31, 0xb9a8, v14
	v_fmamk_f16 v14, v25, 0xbb64, v27
	v_sub_f16_e32 v4, v19, v4
	v_fma_f16 v7, v7, 2.0, -v23
	v_fma_f16 v22, v22, 2.0, -v71
	;; [unrolled: 1-line block ×4, first 2 shown]
	v_fmamk_f16 v70, v0, 0xbb64, v11
	v_fmac_f16_e32 v14, 0x361f, v0
	v_fma_f16 v0, v19, 2.0, -v4
	v_fmamk_f16 v19, v69, 0xb9a8, v21
	v_fma_f16 v3, v3, 2.0, -v26
	v_fma_f16 v12, v12, 2.0, -v28
	v_fmac_f16_e32 v70, 0xb61f, v25
	v_fmamk_f16 v25, v8, 0xb9a8, v7
	v_fmac_f16_e32 v19, 0x39a8, v8
	v_fmamk_f16 v8, v30, 0xb61f, v22
	v_fmamk_f16 v75, v12, 0xb61f, v3
	v_sub_f16_e32 v2, v1, v2
	v_fmac_f16_e32 v25, 0xb9a8, v69
	v_fmamk_f16 v69, v10, 0x39a8, v9
	v_fmac_f16_e32 v8, 0xbb64, v12
	v_fmamk_f16 v12, v13, 0x361f, v73
	;; [unrolled: 2-line block ×3, first 2 shown]
	v_add_f16_e32 v6, v20, v6
	v_sub_f16_e32 v29, v5, v29
	v_fmac_f16_e32 v12, 0x3b64, v72
	v_fmamk_f16 v72, v24, 0x39a8, v23
	v_fmac_f16_e32 v30, 0xbb64, v13
	v_fmac_f16_e32 v69, 0x39a8, v24
	v_fmamk_f16 v24, v31, 0x3b64, v71
	v_fma_f16 v1, v1, 2.0, -v2
	v_fmac_f16_e32 v72, 0xb9a8, v10
	v_fmamk_f16 v10, v28, 0x3b64, v26
	v_fma_f16 v27, v27, 2.0, -v14
	v_fma_f16 v11, v11, 2.0, -v70
	;; [unrolled: 1-line block ×6, first 2 shown]
	v_fmac_f16_e32 v10, 0x361f, v31
	v_fmac_f16_e32 v24, 0xb61f, v28
	v_fma_f16 v21, v21, 2.0, -v19
	v_fma_f16 v7, v7, 2.0, -v25
	;; [unrolled: 1-line block ×6, first 2 shown]
	v_pack_b32_f16 v0, v1, v0
	v_pack_b32_f16 v1, v27, v11
	;; [unrolled: 1-line block ×4, first 2 shown]
	v_fma_f16 v13, v26, 2.0, -v10
	v_fma_f16 v20, v71, 2.0, -v24
	v_pack_b32_f16 v7, v21, v7
	v_pack_b32_f16 v3, v3, v22
	ds_store_2addr_b32 v56, v0, v1 offset1:48
	ds_store_2addr_b32 v56, v7, v3 offset0:96 offset1:144
	ds_store_2addr_b32 v56, v5, v11 offset0:192 offset1:240
	v_pack_b32_f16 v0, v9, v23
	v_pack_b32_f16 v1, v13, v20
	;; [unrolled: 1-line block ×10, first 2 shown]
	ds_store_2addr_b32 v18, v0, v1 offset0:32 offset1:80
	ds_store_2addr_b32 v18, v2, v3 offset0:128 offset1:176
	;; [unrolled: 1-line block ×5, first 2 shown]
	global_wb scope:SCOPE_SE
	s_wait_dscnt 0x0
	s_barrier_signal -1
	s_barrier_wait -1
	global_inv scope:SCOPE_SE
	ds_load_2addr_b32 v[0:1], v56 offset1:48
	s_wait_dscnt 0x0
	v_lshrrev_b32_e32 v4, 16, v0
	s_delay_alu instid0(VALU_DEP_1) | instskip(NEXT) | instid1(VALU_DEP_1)
	v_mul_f16_e32 v2, v68, v4
	v_fmac_f16_e32 v2, v66, v0
	v_mul_f16_e32 v0, v68, v0
	s_delay_alu instid0(VALU_DEP_2) | instskip(NEXT) | instid1(VALU_DEP_2)
	v_cvt_f32_f16_e32 v2, v2
	v_fma_f16 v0, v66, v4, -v0
	s_delay_alu instid0(VALU_DEP_2) | instskip(NEXT) | instid1(VALU_DEP_2)
	v_cvt_f64_f32_e32 v[2:3], v2
	v_cvt_f32_f16_e32 v0, v0
	s_delay_alu instid0(VALU_DEP_1) | instskip(SKIP_1) | instid1(VALU_DEP_1)
	v_cvt_f64_f32_e32 v[4:5], v0
	v_lshrrev_b32_e32 v0, 16, v1
	v_mul_f16_e32 v6, v67, v0
	s_delay_alu instid0(VALU_DEP_1) | instskip(SKIP_1) | instid1(VALU_DEP_2)
	v_fmac_f16_e32 v6, v65, v1
	v_mul_f16_e32 v1, v67, v1
	v_cvt_f32_f16_e32 v6, v6
	s_delay_alu instid0(VALU_DEP_2) | instskip(SKIP_3) | instid1(VALU_DEP_2)
	v_fma_f16 v0, v65, v0, -v1
	s_wait_alu 0xfffe
	v_mul_f64_e32 v[2:3], s[8:9], v[2:3]
	v_mul_f64_e32 v[4:5], s[8:9], v[4:5]
	v_and_or_b32 v2, 0x1ff, v3, v2
	v_lshrrev_b32_e32 v7, 8, v3
	v_bfe_u32 v8, v3, 20, 11
	s_delay_alu instid0(VALU_DEP_3)
	v_cmp_ne_u32_e32 vcc_lo, 0, v2
	v_and_or_b32 v4, 0x1ff, v5, v4
	v_lshrrev_b32_e32 v11, 8, v5
	v_bfe_u32 v13, v5, 20, 11
	v_add_nc_u32_e32 v14, 0xfffffc10, v8
	s_wait_alu 0xfffd
	v_cndmask_b32_e64 v2, 0, 1, vcc_lo
	v_cmp_ne_u32_e32 vcc_lo, 0, v4
	s_delay_alu instid0(VALU_DEP_2)
	v_and_or_b32 v12, 0xffe, v7, v2
	v_sub_nc_u32_e32 v2, 0x3f1, v8
	v_cvt_f64_f32_e32 v[6:7], v6
	s_wait_alu 0xfffd
	v_cndmask_b32_e64 v4, 0, 1, vcc_lo
	v_or_b32_e32 v9, 0x1000, v12
	v_med3_i32 v2, v2, 0, 13
	s_delay_alu instid0(VALU_DEP_3) | instskip(SKIP_1) | instid1(VALU_DEP_3)
	v_and_or_b32 v4, 0xffe, v11, v4
	v_sub_nc_u32_e32 v11, 0x3f1, v13
	v_lshrrev_b32_e32 v10, v2, v9
	s_delay_alu instid0(VALU_DEP_3) | instskip(NEXT) | instid1(VALU_DEP_3)
	v_or_b32_e32 v19, 0x1000, v4
	v_med3_i32 v8, v11, 0, 13
	s_delay_alu instid0(VALU_DEP_3) | instskip(NEXT) | instid1(VALU_DEP_2)
	v_lshlrev_b32_e32 v2, v2, v10
	v_lshrrev_b32_e32 v20, v8, v19
	s_delay_alu instid0(VALU_DEP_2) | instskip(SKIP_4) | instid1(VALU_DEP_2)
	v_cmp_ne_u32_e32 vcc_lo, v2, v9
	v_cvt_f32_f16_e32 v9, v0
	s_wait_alu 0xfffd
	v_cndmask_b32_e64 v2, 0, 1, vcc_lo
	v_cmp_gt_i32_e32 vcc_lo, 1, v14
	v_or_b32_e32 v1, v10, v2
	v_lshl_or_b32 v2, v14, 12, v12
	ds_load_2addr_b32 v[10:11], v56 offset0:96 offset1:144
	s_wait_alu 0xfffd
	v_dual_cndmask_b32 v21, v2, v1 :: v_dual_lshlrev_b32 v2, v8, v20
	v_cvt_f64_f32_e32 v[8:9], v9
	v_mad_co_u64_u32 v[0:1], null, s6, v15, 0
	v_mul_f64_e32 v[6:7], s[8:9], v[6:7]
	s_delay_alu instid0(VALU_DEP_4) | instskip(SKIP_4) | instid1(VALU_DEP_3)
	v_cmp_ne_u32_e32 vcc_lo, v2, v19
	v_and_b32_e32 v22, 7, v21
	v_add_nc_u32_e32 v19, 0xfffffc10, v13
	s_wait_alu 0xfffd
	v_cndmask_b32_e64 v2, 0, 1, vcc_lo
	v_cmp_lt_i32_e32 vcc_lo, 5, v22
	v_cmp_eq_u32_e64 s0, 3, v22
	v_cmp_gt_i32_e64 s1, 1, v19
	s_delay_alu instid0(VALU_DEP_4)
	v_or_b32_e32 v13, v20, v2
	v_mad_co_u64_u32 v[1:2], null, s7, v15, v[1:2]
	v_lshrrev_b32_e32 v2, 2, v21
	v_lshl_or_b32 v20, v19, 12, v4
	s_or_b32 vcc_lo, s0, vcc_lo
	s_mul_u64 s[6:7], s[4:5], 0x180
	s_wait_alu 0xfffe
	v_add_co_ci_u32_e32 v2, vcc_lo, 0, v2, vcc_lo
	v_cndmask_b32_e64 v13, v20, v13, s1
	v_cmp_ne_u32_e32 vcc_lo, 0, v12
	s_wait_dscnt 0x0
	v_lshrrev_b32_e32 v20, 16, v10
	v_cmp_eq_u32_e64 s1, 0x40f, v14
	v_lshlrev_b64_e32 v[0:1], 2, v[0:1]
	s_wait_alu 0xfffd
	v_cndmask_b32_e64 v12, 0, 1, vcc_lo
	v_cmp_gt_i32_e32 vcc_lo, 31, v14
	v_and_b32_e32 v15, 7, v13
	v_lshrrev_b32_e32 v13, 2, v13
	v_mul_f16_e32 v21, v64, v20
	v_lshl_or_b32 v12, v12, 9, 0x7c00
	s_wait_alu 0xfffd
	v_cndmask_b32_e32 v2, 0x7c00, v2, vcc_lo
	v_cmp_lt_i32_e32 vcc_lo, 5, v15
	v_cmp_eq_u32_e64 s0, 3, v15
	v_fmac_f16_e32 v21, v62, v10
	v_lshrrev_b32_e32 v15, 16, v3
	s_wait_alu 0xf1ff
	v_cndmask_b32_e64 v14, v2, v12, s1
	v_mul_f64_e32 v[2:3], s[8:9], v[8:9]
	s_or_b32 vcc_lo, s0, vcc_lo
	v_cvt_f32_f16_e32 v8, v21
	s_wait_alu 0xfffe
	v_add_co_ci_u32_e32 v12, vcc_lo, 0, v13, vcc_lo
	v_cmp_gt_i32_e32 vcc_lo, 31, v19
	v_and_or_b32 v6, 0x1ff, v7, v6
	v_cvt_f64_f32_e32 v[8:9], v8
	v_lshrrev_b32_e32 v22, 8, v7
	v_bfe_u32 v23, v7, 20, 11
	s_wait_alu 0xfffd
	v_cndmask_b32_e32 v21, 0x7c00, v12, vcc_lo
	v_cmp_ne_u32_e32 vcc_lo, 0, v4
	v_mad_co_u64_u32 v[12:13], null, s4, v59, 0
	v_mul_f16_e32 v10, v64, v10
	s_wait_alu 0xfffd
	v_cndmask_b32_e64 v4, 0, 1, vcc_lo
	v_cmp_ne_u32_e32 vcc_lo, 0, v6
	s_delay_alu instid0(VALU_DEP_3) | instskip(NEXT) | instid1(VALU_DEP_3)
	v_fma_f16 v10, v62, v20, -v10
	v_lshl_or_b32 v4, v4, 9, 0x7c00
	s_wait_alu 0xfffd
	v_cndmask_b32_e64 v6, 0, 1, vcc_lo
	v_cmp_eq_u32_e32 vcc_lo, 0x40f, v19
	v_cvt_f32_f16_e32 v10, v10
	s_delay_alu instid0(VALU_DEP_3)
	v_and_or_b32 v6, 0xffe, v22, v6
	s_wait_alu 0xfffd
	v_cndmask_b32_e32 v19, v21, v4, vcc_lo
	v_mov_b32_e32 v4, v13
	v_sub_nc_u32_e32 v13, 0x3f1, v23
	v_lshrrev_b32_e32 v21, 16, v5
	v_or_b32_e32 v22, 0x1000, v6
	s_delay_alu instid0(VALU_DEP_4) | instskip(NEXT) | instid1(VALU_DEP_4)
	v_mad_co_u64_u32 v[4:5], null, s5, v59, v[4:5]
	v_med3_i32 v5, v13, 0, 13
	v_and_or_b32 v13, 0x8000, v15, v14
	v_and_or_b32 v14, 0x8000, v21, v19
	;; [unrolled: 1-line block ×3, first 2 shown]
	s_delay_alu instid0(VALU_DEP_4) | instskip(NEXT) | instid1(VALU_DEP_4)
	v_lshrrev_b32_e32 v15, v5, v22
	v_and_b32_e32 v19, 0xffff, v13
	v_mov_b32_e32 v13, v4
	v_mul_f64_e32 v[8:9], s[8:9], v[8:9]
	s_delay_alu instid0(VALU_DEP_4) | instskip(NEXT) | instid1(VALU_DEP_4)
	v_lshlrev_b32_e32 v21, v5, v15
	v_lshl_or_b32 v19, v14, 16, v19
	s_delay_alu instid0(VALU_DEP_4) | instskip(SKIP_4) | instid1(VALU_DEP_3)
	v_lshlrev_b64_e32 v[4:5], 2, v[12:13]
	v_lshrrev_b32_e32 v13, 8, v3
	v_bfe_u32 v14, v3, 20, 11
	v_cmp_ne_u32_e32 vcc_lo, v21, v22
	v_add_nc_u32_e32 v21, 0xfffffc10, v23
	v_sub_nc_u32_e32 v20, 0x3f1, v14
	s_wait_alu 0xfffd
	v_cndmask_b32_e64 v12, 0, 1, vcc_lo
	v_cmp_ne_u32_e32 vcc_lo, 0, v2
	s_delay_alu instid0(VALU_DEP_3) | instskip(NEXT) | instid1(VALU_DEP_3)
	v_med3_i32 v20, v20, 0, 13
	v_or_b32_e32 v12, v15, v12
	s_wait_alu 0xfffd
	v_cndmask_b32_e64 v2, 0, 1, vcc_lo
	v_lshl_or_b32 v15, v21, 12, v6
	v_cmp_gt_i32_e32 vcc_lo, 1, v21
	s_delay_alu instid0(VALU_DEP_3) | instskip(SKIP_1) | instid1(VALU_DEP_3)
	v_and_or_b32 v2, 0xffe, v13, v2
	s_wait_alu 0xfffd
	v_cndmask_b32_e32 v15, v15, v12, vcc_lo
	v_cvt_f64_f32_e32 v[12:13], v10
	v_add_co_u32 v0, vcc_lo, s2, v0
	v_or_b32_e32 v10, 0x1000, v2
	s_wait_alu 0xfffd
	v_add_co_ci_u32_e32 v1, vcc_lo, s3, v1, vcc_lo
	s_delay_alu instid0(VALU_DEP_3) | instskip(NEXT) | instid1(VALU_DEP_3)
	v_add_co_u32 v4, vcc_lo, v0, v4
	v_lshrrev_b32_e32 v23, v20, v10
	s_wait_alu 0xfffd
	s_delay_alu instid0(VALU_DEP_3) | instskip(SKIP_1) | instid1(VALU_DEP_2)
	v_add_co_ci_u32_e32 v5, vcc_lo, v1, v5, vcc_lo
	s_mul_u64 s[2:3], s[4:5], 0xc0
	v_lshlrev_b32_e32 v20, v20, v23
	v_and_b32_e32 v22, 7, v15
	v_lshrrev_b32_e32 v15, 2, v15
	v_and_or_b32 v8, 0x1ff, v9, v8
	v_bfe_u32 v25, v9, 20, 11
	v_cmp_ne_u32_e64 s1, v20, v10
	v_cmp_lt_i32_e32 vcc_lo, 5, v22
	v_cmp_eq_u32_e64 s0, 3, v22
	v_lshrrev_b32_e32 v22, 16, v11
	v_add_nc_u32_e32 v20, 0xfffffc10, v14
	s_wait_alu 0xf1ff
	v_cndmask_b32_e64 v10, 0, 1, s1
	global_store_b32 v[4:5], v19, off
	s_or_b32 vcc_lo, s0, vcc_lo
	v_mul_f16_e32 v14, v63, v22
	s_wait_alu 0xfffe
	v_add_co_ci_u32_e32 v24, vcc_lo, 0, v15, vcc_lo
	v_cmp_ne_u32_e32 vcc_lo, 0, v6
	v_or_b32_e32 v10, v23, v10
	v_lshl_or_b32 v15, v20, 12, v2
	v_fmac_f16_e32 v14, v61, v11
	v_lshrrev_b32_e32 v23, 8, v9
	s_wait_alu 0xfffd
	v_cndmask_b32_e64 v6, 0, 1, vcc_lo
	v_cmp_gt_i32_e32 vcc_lo, 1, v20
	v_mul_f16_e32 v11, v63, v11
	v_cvt_f32_f16_e32 v14, v14
	v_mul_f64_e32 v[12:13], s[8:9], v[12:13]
	v_lshl_or_b32 v6, v6, 9, 0x7c00
	s_wait_alu 0xfffd
	v_cndmask_b32_e32 v10, v15, v10, vcc_lo
	v_cmp_ne_u32_e32 vcc_lo, 0, v8
	v_cvt_f64_f32_e32 v[14:15], v14
	v_fma_f16 v11, v61, v22, -v11
	v_lshrrev_b32_e32 v9, 16, v9
	v_and_b32_e32 v26, 7, v10
	s_wait_alu 0xfffd
	v_cndmask_b32_e64 v8, 0, 1, vcc_lo
	v_cmp_gt_i32_e32 vcc_lo, 31, v21
	v_cvt_f32_f16_e32 v11, v11
	v_cmp_eq_u32_e64 s0, 3, v26
	s_delay_alu instid0(VALU_DEP_4)
	v_and_or_b32 v8, 0xffe, v23, v8
	s_wait_alu 0xfffd
	v_cndmask_b32_e32 v24, 0x7c00, v24, vcc_lo
	v_cmp_eq_u32_e32 vcc_lo, 0x40f, v21
	v_sub_nc_u32_e32 v23, 0x3f1, v25
	s_wait_alu 0xfffd
	s_delay_alu instid0(VALU_DEP_3) | instskip(SKIP_1) | instid1(VALU_DEP_3)
	v_cndmask_b32_e32 v21, v24, v6, vcc_lo
	v_cmp_lt_i32_e32 vcc_lo, 5, v26
	v_med3_i32 v6, v23, 0, 13
	v_lshrrev_b32_e32 v23, 16, v7
	v_lshrrev_b32_e32 v7, 2, v10
	v_or_b32_e32 v24, 0x1000, v8
	s_or_b32 vcc_lo, s0, vcc_lo
	s_delay_alu instid0(VALU_DEP_3)
	v_and_or_b32 v21, 0x8000, v23, v21
	s_wait_alu 0xfffe
	v_add_co_ci_u32_e32 v7, vcc_lo, 0, v7, vcc_lo
	v_lshrrev_b32_e32 v10, v6, v24
	v_cmp_ne_u32_e32 vcc_lo, 0, v2
	v_lshrrev_b32_e32 v23, 16, v3
	s_delay_alu instid0(VALU_DEP_3) | instskip(SKIP_4) | instid1(VALU_DEP_3)
	v_lshlrev_b32_e32 v22, v6, v10
	s_wait_alu 0xfffd
	v_cndmask_b32_e64 v2, 0, 1, vcc_lo
	v_cmp_gt_i32_e32 vcc_lo, 31, v20
	v_and_or_b32 v12, 0x1ff, v13, v12
	v_lshl_or_b32 v2, v2, 9, 0x7c00
	s_wait_alu 0xfffd
	v_cndmask_b32_e32 v26, 0x7c00, v7, vcc_lo
	v_cmp_ne_u32_e32 vcc_lo, v22, v24
	v_cvt_f64_f32_e32 v[6:7], v11
	v_add_nc_u32_e32 v22, 0xfffffc10, v25
	s_wait_alu 0xfffd
	v_cndmask_b32_e64 v11, 0, 1, vcc_lo
	v_cmp_eq_u32_e32 vcc_lo, 0x40f, v20
	s_delay_alu instid0(VALU_DEP_2)
	v_or_b32_e32 v10, v10, v11
	s_wait_alu 0xfffd
	v_cndmask_b32_e32 v20, v26, v2, vcc_lo
	v_lshl_or_b32 v11, v22, 12, v8
	v_cmp_gt_i32_e32 vcc_lo, 1, v22
	v_mul_f64_e32 v[2:3], s[8:9], v[14:15]
	v_bfe_u32 v14, v13, 20, 11
	v_and_or_b32 v15, 0x8000, v23, v20
	v_and_b32_e32 v20, 0xffff, v21
	s_wait_alu 0xfffd
	v_cndmask_b32_e32 v10, v11, v10, vcc_lo
	v_cmp_ne_u32_e32 vcc_lo, 0, v12
	v_lshrrev_b32_e32 v12, 8, v13
	v_lshrrev_b32_e32 v13, 16, v13
	v_lshl_or_b32 v19, v15, 16, v20
	v_and_b32_e32 v21, 7, v10
	s_wait_alu 0xfffd
	v_cndmask_b32_e64 v11, 0, 1, vcc_lo
	s_delay_alu instid0(VALU_DEP_2) | instskip(SKIP_1) | instid1(VALU_DEP_3)
	v_cmp_lt_i32_e32 vcc_lo, 5, v21
	v_cmp_eq_u32_e64 s0, 3, v21
	v_and_or_b32 v12, 0xffe, v12, v11
	v_sub_nc_u32_e32 v11, 0x3f1, v14
	v_lshrrev_b32_e32 v21, 2, v10
	s_delay_alu instid0(VALU_DEP_4) | instskip(NEXT) | instid1(VALU_DEP_3)
	s_or_b32 vcc_lo, s0, vcc_lo
	v_or_b32_e32 v15, 0x1000, v12
	s_delay_alu instid0(VALU_DEP_3)
	v_med3_i32 v20, v11, 0, 13
	ds_load_2addr_b32 v[10:11], v56 offset0:192 offset1:240
	s_wait_alu 0xfffe
	v_add_co_ci_u32_e32 v21, vcc_lo, 0, v21, vcc_lo
	v_cmp_ne_u32_e32 vcc_lo, 0, v8
	v_lshrrev_b32_e32 v23, v20, v15
	v_mul_f64_e32 v[6:7], s[8:9], v[6:7]
	s_wait_alu 0xfffd
	v_cndmask_b32_e64 v8, 0, 1, vcc_lo
	v_add_co_u32 v4, vcc_lo, v4, s2
	s_wait_alu 0xfffd
	v_add_co_ci_u32_e32 v5, vcc_lo, s3, v5, vcc_lo
	v_lshlrev_b32_e32 v20, v20, v23
	v_cmp_gt_i32_e32 vcc_lo, 31, v22
	v_lshl_or_b32 v8, v8, 9, 0x7c00
	v_and_or_b32 v2, 0x1ff, v3, v2
	v_bfe_u32 v24, v3, 20, 11
	global_store_b32 v[4:5], v19, off
	s_wait_alu 0xfffd
	v_cndmask_b32_e32 v21, 0x7c00, v21, vcc_lo
	v_cmp_ne_u32_e32 vcc_lo, v20, v15
	v_add_nc_u32_e32 v20, 0xfffffc10, v14
	s_wait_dscnt 0x0
	v_lshrrev_b32_e32 v14, 16, v10
	s_wait_alu 0xfffd
	v_cndmask_b32_e64 v15, 0, 1, vcc_lo
	v_cmp_eq_u32_e32 vcc_lo, 0x40f, v22
	s_delay_alu instid0(VALU_DEP_3) | instskip(NEXT) | instid1(VALU_DEP_3)
	v_mul_f16_e32 v22, v60, v14
	v_or_b32_e32 v15, v23, v15
	s_wait_alu 0xfffd
	v_cndmask_b32_e32 v8, v21, v8, vcc_lo
	v_cmp_ne_u32_e32 vcc_lo, 0, v2
	v_lshl_or_b32 v21, v20, 12, v12
	v_fmac_f16_e32 v22, v58, v10
	v_lshrrev_b32_e32 v23, 8, v3
	v_mul_f16_e32 v10, v60, v10
	s_wait_alu 0xfffd
	v_cndmask_b32_e64 v2, 0, 1, vcc_lo
	v_cmp_gt_i32_e32 vcc_lo, 1, v20
	v_cvt_f32_f16_e32 v22, v22
	v_fma_f16 v10, v58, v14, -v10
	s_delay_alu instid0(VALU_DEP_4)
	v_and_or_b32 v2, 0xffe, v23, v2
	s_wait_alu 0xfffd
	v_cndmask_b32_e32 v15, v21, v15, vcc_lo
	v_sub_nc_u32_e32 v21, 0x3f1, v24
	v_and_or_b32 v6, 0x1ff, v7, v6
	v_lshrrev_b32_e32 v14, 8, v7
	v_or_b32_e32 v26, 0x1000, v2
	v_and_b32_e32 v23, 7, v15
	v_and_or_b32 v25, 0x8000, v9, v8
	v_cvt_f64_f32_e32 v[8:9], v22
	v_med3_i32 v21, v21, 0, 13
	v_lshrrev_b32_e32 v15, 2, v15
	v_cmp_lt_i32_e32 vcc_lo, 5, v23
	v_cmp_eq_u32_e64 s0, 3, v23
	v_cvt_f32_f16_e32 v10, v10
	v_lshrrev_b32_e32 v22, v21, v26
	v_add_nc_u32_e32 v24, 0xfffffc10, v24
	s_delay_alu instid0(VALU_DEP_4)
	s_or_b32 vcc_lo, s0, vcc_lo
	s_wait_alu 0xfffe
	v_add_co_ci_u32_e32 v23, vcc_lo, 0, v15, vcc_lo
	v_lshlrev_b32_e32 v15, v21, v22
	v_cmp_ne_u32_e32 vcc_lo, 0, v6
	v_bfe_u32 v21, v7, 20, 11
	s_wait_alu 0xfffd
	v_cndmask_b32_e64 v6, 0, 1, vcc_lo
	v_cmp_ne_u32_e32 vcc_lo, v15, v26
	s_delay_alu instid0(VALU_DEP_3) | instskip(NEXT) | instid1(VALU_DEP_3)
	v_sub_nc_u32_e32 v27, 0x3f1, v21
	v_and_or_b32 v6, 0xffe, v14, v6
	s_wait_alu 0xfffd
	v_cndmask_b32_e64 v26, 0, 1, vcc_lo
	v_cmp_ne_u32_e32 vcc_lo, 0, v12
	v_cvt_f64_f32_e32 v[14:15], v10
	v_med3_i32 v27, v27, 0, 13
	s_delay_alu instid0(VALU_DEP_4)
	v_or_b32_e32 v12, v22, v26
	s_wait_alu 0xfffd
	v_cndmask_b32_e64 v10, 0, 1, vcc_lo
	v_cmp_gt_i32_e32 vcc_lo, 31, v20
	v_lshl_or_b32 v22, v24, 12, v2
	v_or_b32_e32 v26, 0x1000, v6
	s_delay_alu instid0(VALU_DEP_4)
	v_lshl_or_b32 v10, v10, 9, 0x7c00
	s_wait_alu 0xfffd
	v_cndmask_b32_e32 v23, 0x7c00, v23, vcc_lo
	v_cmp_gt_i32_e32 vcc_lo, 1, v24
	v_mul_f64_e32 v[8:9], s[8:9], v[8:9]
	s_wait_alu 0xfffd
	v_cndmask_b32_e32 v12, v22, v12, vcc_lo
	v_lshrrev_b32_e32 v22, v27, v26
	v_cmp_eq_u32_e32 vcc_lo, 0x40f, v20
	s_delay_alu instid0(VALU_DEP_3) | instskip(SKIP_3) | instid1(VALU_DEP_3)
	v_and_b32_e32 v20, 7, v12
	s_wait_alu 0xfffd
	v_cndmask_b32_e32 v10, v23, v10, vcc_lo
	v_lshlrev_b32_e32 v23, v27, v22
	v_cmp_lt_i32_e32 vcc_lo, 5, v20
	s_delay_alu instid0(VALU_DEP_3) | instskip(NEXT) | instid1(VALU_DEP_3)
	v_and_or_b32 v10, 0x8000, v13, v10
	v_cmp_ne_u32_e64 s0, v23, v26
	v_and_b32_e32 v13, 0xffff, v25
	s_wait_alu 0xf1ff
	s_delay_alu instid0(VALU_DEP_2) | instskip(SKIP_1) | instid1(VALU_DEP_3)
	v_cndmask_b32_e64 v19, 0, 1, s0
	v_cmp_eq_u32_e64 s0, 3, v20
	v_lshl_or_b32 v20, v10, 16, v13
	v_lshrrev_b32_e32 v10, 2, v12
	s_delay_alu instid0(VALU_DEP_4) | instskip(NEXT) | instid1(VALU_DEP_4)
	v_or_b32_e32 v12, v22, v19
	s_or_b32 vcc_lo, s0, vcc_lo
	s_wait_alu 0xfffe
	s_delay_alu instid0(VALU_DEP_2) | instskip(SKIP_4) | instid1(VALU_DEP_2)
	v_add_co_ci_u32_e32 v10, vcc_lo, 0, v10, vcc_lo
	v_cmp_ne_u32_e32 vcc_lo, 0, v2
	s_wait_alu 0xfffd
	v_cndmask_b32_e64 v2, 0, 1, vcc_lo
	v_bfe_u32 v22, v9, 20, 11
	v_lshl_or_b32 v2, v2, 9, 0x7c00
	v_add_nc_u32_e32 v21, 0xfffffc10, v21
	s_delay_alu instid0(VALU_DEP_3) | instskip(NEXT) | instid1(VALU_DEP_2)
	v_sub_nc_u32_e32 v23, 0x3f1, v22
	v_lshl_or_b32 v13, v21, 12, v6
	v_cmp_gt_i32_e32 vcc_lo, 1, v21
	s_delay_alu instid0(VALU_DEP_3) | instskip(SKIP_1) | instid1(VALU_DEP_3)
	v_med3_i32 v23, v23, 0, 13
	s_wait_alu 0xfffd
	v_cndmask_b32_e32 v19, v13, v12, vcc_lo
	v_cmp_gt_i32_e32 vcc_lo, 31, v24
	v_mul_f64_e32 v[12:13], s[8:9], v[14:15]
	v_lshrrev_b32_e32 v15, 16, v11
	s_delay_alu instid0(VALU_DEP_4)
	v_and_b32_e32 v14, 7, v19
	s_wait_alu 0xfffd
	v_cndmask_b32_e32 v10, 0x7c00, v10, vcc_lo
	v_add_co_u32 v4, vcc_lo, v4, s2
	s_wait_alu 0xfffd
	v_add_co_ci_u32_e32 v5, vcc_lo, s3, v5, vcc_lo
	v_cmp_eq_u32_e32 vcc_lo, 0x40f, v24
	v_cmp_eq_u32_e64 s0, 3, v14
	global_store_b32 v[4:5], v20, off
	s_wait_alu 0xfffd
	v_cndmask_b32_e32 v10, v10, v2, vcc_lo
	v_cmp_lt_i32_e32 vcc_lo, 5, v14
	v_lshrrev_b32_e32 v2, 2, v19
	v_lshrrev_b32_e32 v14, 16, v3
	v_and_or_b32 v3, 0x1ff, v9, v8
	v_mul_f16_e32 v8, v57, v15
	s_or_b32 vcc_lo, s0, vcc_lo
	v_lshrrev_b32_e32 v19, 8, v9
	s_wait_alu 0xfffe
	v_add_co_ci_u32_e32 v2, vcc_lo, 0, v2, vcc_lo
	v_cmp_ne_u32_e32 vcc_lo, 0, v3
	v_fmac_f16_e32 v8, v55, v11
	v_and_or_b32 v10, 0x8000, v14, v10
	s_wait_alu 0xfffd
	v_cndmask_b32_e64 v3, 0, 1, vcc_lo
	v_cmp_ne_u32_e32 vcc_lo, 0, v6
	v_cvt_f32_f16_e32 v8, v8
	s_delay_alu instid0(VALU_DEP_3) | instskip(SKIP_4) | instid1(VALU_DEP_3)
	v_and_or_b32 v19, 0xffe, v19, v3
	s_wait_alu 0xfffd
	v_cndmask_b32_e64 v6, 0, 1, vcc_lo
	v_cmp_gt_i32_e32 vcc_lo, 31, v21
	v_and_or_b32 v12, 0x1ff, v13, v12
	v_lshl_or_b32 v6, v6, 9, 0x7c00
	s_wait_alu 0xfffd
	v_cndmask_b32_e32 v24, 0x7c00, v2, vcc_lo
	v_cvt_f64_f32_e32 v[2:3], v8
	v_or_b32_e32 v8, 0x1000, v19
	v_cmp_eq_u32_e32 vcc_lo, 0x40f, v21
	s_delay_alu instid0(VALU_DEP_2)
	v_lshrrev_b32_e32 v21, v23, v8
	s_wait_alu 0xfffd
	v_cndmask_b32_e32 v14, v24, v6, vcc_lo
	v_mul_f16_e32 v6, v57, v11
	v_cmp_ne_u32_e32 vcc_lo, 0, v12
	v_lshrrev_b32_e32 v12, 8, v13
	v_bfe_u32 v24, v13, 20, 11
	v_lshrrev_b32_e32 v13, 16, v13
	v_fma_f16 v6, v55, v15, -v6
	v_lshlrev_b32_e32 v15, v23, v21
	s_wait_alu 0xfffd
	v_cndmask_b32_e64 v11, 0, 1, vcc_lo
	v_lshrrev_b32_e32 v23, 16, v7
	v_sub_nc_u32_e32 v7, 0x3f1, v24
	v_cvt_f32_f16_e32 v6, v6
	v_cmp_ne_u32_e32 vcc_lo, v15, v8
	v_and_or_b32 v12, 0xffe, v12, v11
	v_and_or_b32 v14, 0x8000, v23, v14
	v_med3_i32 v25, v7, 0, 13
	v_cvt_f64_f32_e32 v[6:7], v6
	s_wait_alu 0xfffd
	v_cndmask_b32_e64 v8, 0, 1, vcc_lo
	v_and_b32_e32 v23, 0xffff, v10
	s_delay_alu instid0(VALU_DEP_2) | instskip(SKIP_2) | instid1(VALU_DEP_4)
	v_or_b32_e32 v8, v21, v8
	v_add_nc_u32_e32 v15, 0xfffffc10, v22
	v_or_b32_e32 v22, 0x1000, v12
	v_lshl_or_b32 v20, v14, 16, v23
	v_add_nc_u32_e32 v23, 0xfffffc10, v24
	s_delay_alu instid0(VALU_DEP_4) | instskip(NEXT) | instid1(VALU_DEP_4)
	v_lshl_or_b32 v11, v15, 12, v19
	v_lshrrev_b32_e32 v21, v25, v22
	v_cmp_gt_i32_e32 vcc_lo, 1, v15
	v_mul_f64_e32 v[2:3], s[8:9], v[2:3]
	v_cmp_gt_i32_e64 s1, 1, v23
	s_wait_alu 0xfffd
	v_dual_cndmask_b32 v8, v11, v8 :: v_dual_lshlrev_b32 v25, v25, v21
	ds_load_2addr_b32 v[10:11], v18 offset0:32 offset1:80
	v_cmp_ne_u32_e32 vcc_lo, v25, v22
	v_and_b32_e32 v14, 7, v8
	v_lshrrev_b32_e32 v8, 2, v8
	s_wait_alu 0xfffd
	v_cndmask_b32_e64 v22, 0, 1, vcc_lo
	v_add_co_u32 v4, vcc_lo, v4, s2
	s_wait_alu 0xfffd
	v_add_co_ci_u32_e32 v5, vcc_lo, s3, v5, vcc_lo
	v_cmp_lt_i32_e32 vcc_lo, 5, v14
	v_cmp_eq_u32_e64 s0, 3, v14
	v_or_b32_e32 v21, v21, v22
	v_lshl_or_b32 v22, v23, 12, v12
	global_store_b32 v[4:5], v20, off
	v_mul_f64_e32 v[6:7], s[8:9], v[6:7]
	s_or_b32 vcc_lo, s0, vcc_lo
	s_wait_alu 0xfffe
	v_add_co_ci_u32_e32 v8, vcc_lo, 0, v8, vcc_lo
	v_cndmask_b32_e64 v14, v22, v21, s1
	v_cmp_ne_u32_e32 vcc_lo, 0, v19
	s_wait_dscnt 0x0
	v_lshrrev_b32_e32 v21, 16, v10
	v_cmp_eq_u32_e64 s1, 0x40f, v15
	v_and_b32_e32 v22, 7, v14
	s_wait_alu 0xfffd
	v_cndmask_b32_e64 v19, 0, 1, vcc_lo
	v_cmp_gt_i32_e32 vcc_lo, 31, v15
	v_mul_f16_e32 v24, v54, v21
	v_lshrrev_b32_e32 v14, 2, v14
	v_cmp_eq_u32_e64 s0, 3, v22
	v_lshl_or_b32 v19, v19, 9, 0x7c00
	s_wait_alu 0xfffd
	v_cndmask_b32_e32 v8, 0x7c00, v8, vcc_lo
	v_cmp_lt_i32_e32 vcc_lo, 5, v22
	v_fmac_f16_e32 v24, v52, v10
	v_and_or_b32 v2, 0x1ff, v3, v2
	v_lshrrev_b32_e32 v22, 16, v9
	s_wait_alu 0xf1ff
	v_cndmask_b32_e64 v19, v8, v19, s1
	s_or_b32 vcc_lo, s0, vcc_lo
	v_cvt_f32_f16_e32 v8, v24
	s_wait_alu 0xfffe
	v_add_co_ci_u32_e32 v14, vcc_lo, 0, v14, vcc_lo
	v_cmp_gt_i32_e32 vcc_lo, 31, v23
	v_lshrrev_b32_e32 v25, 8, v3
	v_cvt_f64_f32_e32 v[8:9], v8
	v_bfe_u32 v26, v3, 20, 11
	v_mul_f16_e32 v10, v54, v10
	s_wait_alu 0xfffd
	v_cndmask_b32_e32 v24, 0x7c00, v14, vcc_lo
	v_cmp_ne_u32_e32 vcc_lo, 0, v12
	v_mad_co_u64_u32 v[14:15], null, s4, v50, 0
	v_fma_f16 v10, v52, v21, -v10
	v_and_or_b32 v22, 0x8000, v22, v19
	s_wait_alu 0xfffd
	v_cndmask_b32_e64 v12, 0, 1, vcc_lo
	v_cmp_ne_u32_e32 vcc_lo, 0, v2
	v_and_or_b32 v6, 0x1ff, v7, v6
	v_bfe_u32 v21, v7, 20, 11
	v_cvt_f32_f16_e32 v10, v10
	v_lshl_or_b32 v12, v12, 9, 0x7c00
	s_wait_alu 0xfffd
	v_cndmask_b32_e64 v2, 0, 1, vcc_lo
	v_cmp_eq_u32_e32 vcc_lo, 0x40f, v23
	v_and_b32_e32 v22, 0xffff, v22
	v_cvt_f64_f32_e32 v[19:20], v10
	s_delay_alu instid0(VALU_DEP_4)
	v_and_or_b32 v25, 0xffe, v25, v2
	v_sub_nc_u32_e32 v2, 0x3f1, v26
	s_wait_alu 0xfffd
	v_cndmask_b32_e32 v12, v24, v12, vcc_lo
	v_cmp_ne_u32_e32 vcc_lo, 0, v6
	v_or_b32_e32 v23, 0x1000, v25
	v_med3_i32 v24, v2, 0, 13
	v_mov_b32_e32 v2, v15
	v_and_or_b32 v27, 0x8000, v13, v12
	s_wait_alu 0xfffd
	v_cndmask_b32_e64 v6, 0, 1, vcc_lo
	v_lshrrev_b32_e32 v15, v24, v23
	v_mad_co_u64_u32 v[12:13], null, s5, v50, v[2:3]
	v_lshrrev_b32_e32 v13, 8, v7
	v_lshl_or_b32 v22, v27, 16, v22
	s_delay_alu instid0(VALU_DEP_4)
	v_lshlrev_b32_e32 v2, v24, v15
	v_lshrrev_b32_e32 v3, 16, v3
	v_mul_f64_e32 v[8:9], s[8:9], v[8:9]
	v_and_or_b32 v6, 0xffe, v13, v6
	v_sub_nc_u32_e32 v13, 0x3f1, v21
	v_cmp_ne_u32_e32 vcc_lo, v2, v23
	v_add_nc_u32_e32 v23, 0xfffffc10, v26
	v_add_nc_u32_e32 v21, 0xfffffc10, v21
	v_or_b32_e32 v24, 0x1000, v6
	v_med3_i32 v26, v13, 0, 13
	s_wait_alu 0xfffd
	v_cndmask_b32_e64 v2, 0, 1, vcc_lo
	v_lshl_or_b32 v10, v23, 12, v25
	v_cmp_gt_i32_e32 vcc_lo, 1, v23
	s_delay_alu instid0(VALU_DEP_3) | instskip(SKIP_1) | instid1(VALU_DEP_1)
	v_or_b32_e32 v2, v15, v2
	s_wait_alu 0xfffd
	v_dual_mov_b32 v15, v12 :: v_dual_cndmask_b32 v2, v10, v2
	s_delay_alu instid0(VALU_DEP_1) | instskip(SKIP_1) | instid1(VALU_DEP_3)
	v_lshlrev_b64_e32 v[12:13], 2, v[14:15]
	v_lshrrev_b32_e32 v10, v26, v24
	v_and_b32_e32 v14, 7, v2
	v_lshrrev_b32_e32 v2, 2, v2
	s_delay_alu instid0(VALU_DEP_4) | instskip(NEXT) | instid1(VALU_DEP_4)
	v_add_co_u32 v12, vcc_lo, v0, v12
	v_lshlrev_b32_e32 v15, v26, v10
	s_wait_alu 0xfffd
	v_add_co_ci_u32_e32 v13, vcc_lo, v1, v13, vcc_lo
	v_cmp_lt_i32_e32 vcc_lo, 5, v14
	v_cmp_eq_u32_e64 s0, 3, v14
	v_cmp_ne_u32_e64 s1, v15, v24
	v_lshrrev_b32_e32 v24, 16, v11
	global_store_b32 v[12:13], v22, off
	s_or_b32 vcc_lo, s0, vcc_lo
	v_cndmask_b32_e64 v14, 0, 1, s1
	s_wait_alu 0xfffe
	v_add_co_ci_u32_e32 v2, vcc_lo, 0, v2, vcc_lo
	v_cmp_ne_u32_e32 vcc_lo, 0, v25
	v_and_or_b32 v8, 0x1ff, v9, v8
	v_or_b32_e32 v10, v10, v14
	v_lshl_or_b32 v14, v21, 12, v6
	v_mul_f16_e32 v26, v53, v24
	s_wait_alu 0xfffd
	v_cndmask_b32_e64 v25, 0, 1, vcc_lo
	v_cmp_gt_i32_e32 vcc_lo, 1, v21
	v_lshrrev_b32_e32 v27, 8, v9
	v_bfe_u32 v28, v9, 20, 11
	v_fmac_f16_e32 v26, v51, v11
	v_lshl_or_b32 v25, v25, 9, 0x7c00
	s_wait_alu 0xfffd
	v_cndmask_b32_e32 v10, v14, v10, vcc_lo
	v_cmp_gt_i32_e32 vcc_lo, 31, v23
	v_mul_f64_e32 v[14:15], s[8:9], v[19:20]
	v_mul_f16_e32 v11, v53, v11
	v_cvt_f32_f16_e32 v19, v26
	v_and_b32_e32 v26, 7, v10
	s_wait_alu 0xfffd
	v_cndmask_b32_e32 v2, 0x7c00, v2, vcc_lo
	v_cmp_ne_u32_e32 vcc_lo, 0, v8
	v_fma_f16 v11, v51, v24, -v11
	v_cvt_f64_f32_e32 v[19:20], v19
	v_cmp_eq_u32_e64 s0, 3, v26
	s_wait_alu 0xfffd
	v_cndmask_b32_e64 v8, 0, 1, vcc_lo
	v_cmp_eq_u32_e32 vcc_lo, 0x40f, v23
	v_sub_nc_u32_e32 v23, 0x3f1, v28
	v_cvt_f32_f16_e32 v11, v11
	s_delay_alu instid0(VALU_DEP_4)
	v_and_or_b32 v8, 0xffe, v27, v8
	s_wait_alu 0xfffd
	v_cndmask_b32_e32 v2, v2, v25, vcc_lo
	v_med3_i32 v23, v23, 0, 13
	v_cmp_lt_i32_e32 vcc_lo, 5, v26
	v_or_b32_e32 v25, 0x1000, v8
	s_delay_alu instid0(VALU_DEP_4) | instskip(SKIP_2) | instid1(VALU_DEP_3)
	v_and_or_b32 v26, 0x8000, v3, v2
	v_cvt_f64_f32_e32 v[2:3], v11
	s_or_b32 vcc_lo, s0, vcc_lo
	v_lshrrev_b32_e32 v24, v23, v25
	s_delay_alu instid0(VALU_DEP_1) | instskip(SKIP_2) | instid1(VALU_DEP_1)
	v_lshlrev_b32_e32 v11, v23, v24
	v_lshrrev_b32_e32 v10, 2, v10
	s_wait_alu 0xfffe
	v_add_co_ci_u32_e32 v10, vcc_lo, 0, v10, vcc_lo
	v_cmp_ne_u32_e32 vcc_lo, 0, v6
	v_bfe_u32 v29, v15, 20, 11
	s_wait_alu 0xfffd
	v_cndmask_b32_e64 v6, 0, 1, vcc_lo
	v_cmp_gt_i32_e32 vcc_lo, 31, v21
	s_delay_alu instid0(VALU_DEP_2) | instskip(SKIP_4) | instid1(VALU_DEP_2)
	v_lshl_or_b32 v6, v6, 9, 0x7c00
	s_wait_alu 0xfffd
	v_cndmask_b32_e32 v10, 0x7c00, v10, vcc_lo
	v_cmp_eq_u32_e32 vcc_lo, 0x40f, v21
	s_wait_alu 0xfffd
	v_cndmask_b32_e32 v21, v10, v6, vcc_lo
	v_and_or_b32 v6, 0x1ff, v15, v14
	v_cmp_ne_u32_e32 vcc_lo, v11, v25
	v_lshrrev_b32_e32 v14, 16, v7
	v_add_nc_u32_e32 v25, 0xfffffc10, v28
	v_lshrrev_b32_e32 v28, 8, v15
	ds_load_2addr_b32 v[10:11], v18 offset0:128 offset1:176
	s_wait_alu 0xfffd
	v_cndmask_b32_e64 v23, 0, 1, vcc_lo
	v_cmp_ne_u32_e32 vcc_lo, 0, v6
	v_mul_f64_e32 v[6:7], s[8:9], v[19:20]
	v_and_or_b32 v14, 0x8000, v14, v21
	v_lshl_or_b32 v19, v25, 12, v8
	v_or_b32_e32 v18, v24, v23
	s_wait_alu 0xfffd
	v_cndmask_b32_e64 v27, 0, 1, vcc_lo
	v_sub_nc_u32_e32 v21, 0x3f1, v29
	v_cmp_gt_i32_e32 vcc_lo, 1, v25
	v_mul_f64_e32 v[2:3], s[8:9], v[2:3]
	v_lshrrev_b32_e32 v15, 16, v15
	v_and_or_b32 v20, 0xffe, v28, v27
	v_med3_i32 v21, v21, 0, 13
	s_wait_alu 0xfffd
	v_cndmask_b32_e32 v18, v19, v18, vcc_lo
	v_add_co_u32 v4, vcc_lo, v4, s6
	v_or_b32_e32 v19, 0x1000, v20
	s_wait_alu 0xfffd
	v_add_co_ci_u32_e32 v5, vcc_lo, s7, v5, vcc_lo
	s_wait_dscnt 0x0
	v_lshrrev_b32_e32 v22, 16, v10
	v_lshrrev_b32_e32 v13, v21, v19
	s_delay_alu instid0(VALU_DEP_1) | instskip(NEXT) | instid1(VALU_DEP_1)
	v_lshlrev_b32_e32 v21, v21, v13
	v_cmp_ne_u32_e64 s1, v21, v19
	v_add_nc_u32_e32 v21, 0xfffffc10, v29
	v_and_b32_e32 v12, 7, v18
	v_lshrrev_b32_e32 v18, 2, v18
	s_wait_alu 0xf1ff
	v_cndmask_b32_e64 v19, 0, 1, s1
	s_delay_alu instid0(VALU_DEP_3) | instskip(SKIP_2) | instid1(VALU_DEP_4)
	v_cmp_lt_i32_e32 vcc_lo, 5, v12
	v_cmp_eq_u32_e64 s0, 3, v12
	v_mul_f16_e32 v12, v49, v22
	v_or_b32_e32 v19, v13, v19
	v_and_or_b32 v6, 0x1ff, v7, v6
	v_bfe_u32 v24, v7, 20, 11
	s_or_b32 vcc_lo, s0, vcc_lo
	v_fmac_f16_e32 v12, v48, v10
	s_wait_alu 0xfffe
	v_add_co_ci_u32_e32 v18, vcc_lo, 0, v18, vcc_lo
	v_cmp_ne_u32_e32 vcc_lo, 0, v8
	v_and_or_b32 v2, 0x1ff, v3, v2
	v_cvt_f32_f16_e32 v12, v12
	v_mul_f16_e32 v10, v49, v10
	s_wait_alu 0xfffd
	v_cndmask_b32_e64 v8, 0, 1, vcc_lo
	v_cmp_gt_i32_e32 vcc_lo, 1, v21
	v_cvt_f64_f32_e32 v[12:13], v12
	v_fma_f16 v10, v48, v22, -v10
	v_lshrrev_b32_e32 v22, 8, v3
	v_lshl_or_b32 v8, v8, 9, 0x7c00
	v_and_b32_e32 v23, 0xffff, v26
	s_delay_alu instid0(VALU_DEP_4) | instskip(NEXT) | instid1(VALU_DEP_2)
	v_cvt_f32_f16_e32 v10, v10
	v_lshl_or_b32 v14, v14, 16, v23
	v_lshl_or_b32 v23, v21, 12, v20
	global_store_b32 v[4:5], v14, off
	s_wait_alu 0xfffd
	v_cndmask_b32_e32 v19, v23, v19, vcc_lo
	v_cmp_ne_u32_e32 vcc_lo, 0, v6
	v_lshrrev_b32_e32 v23, 8, v7
	v_lshrrev_b32_e32 v7, 16, v7
	s_delay_alu instid0(VALU_DEP_4) | instskip(SKIP_3) | instid1(VALU_DEP_3)
	v_and_b32_e32 v26, 7, v19
	s_wait_alu 0xfffd
	v_cndmask_b32_e64 v6, 0, 1, vcc_lo
	v_cmp_gt_i32_e32 vcc_lo, 31, v25
	v_cmp_eq_u32_e64 s0, 3, v26
	s_delay_alu instid0(VALU_DEP_3)
	v_and_or_b32 v6, 0xffe, v23, v6
	s_wait_alu 0xfffd
	v_cndmask_b32_e32 v18, 0x7c00, v18, vcc_lo
	v_sub_nc_u32_e32 v23, 0x3f1, v24
	v_cmp_eq_u32_e32 vcc_lo, 0x40f, v25
	v_lshrrev_b32_e32 v25, 16, v9
	v_lshrrev_b32_e32 v9, 2, v19
	v_add_nc_u32_e32 v24, 0xfffffc10, v24
	v_med3_i32 v23, v23, 0, 13
	s_wait_alu 0xfffd
	v_cndmask_b32_e32 v18, v18, v8, vcc_lo
	v_or_b32_e32 v8, 0x1000, v6
	v_cmp_lt_i32_e32 vcc_lo, 5, v26
	s_delay_alu instid0(VALU_DEP_3) | instskip(NEXT) | instid1(VALU_DEP_3)
	v_and_or_b32 v14, 0x8000, v25, v18
	v_lshrrev_b32_e32 v19, v23, v8
	s_or_b32 vcc_lo, s0, vcc_lo
	s_wait_alu 0xfffe
	v_add_co_ci_u32_e32 v26, vcc_lo, 0, v9, vcc_lo
	s_delay_alu instid0(VALU_DEP_2)
	v_lshlrev_b32_e32 v9, v23, v19
	v_cmp_ne_u32_e32 vcc_lo, 0, v2
	v_bfe_u32 v23, v3, 20, 11
	v_lshrrev_b32_e32 v3, 16, v3
	s_wait_alu 0xfffd
	v_cndmask_b32_e64 v2, 0, 1, vcc_lo
	v_cmp_ne_u32_e32 vcc_lo, v9, v8
	v_mul_f64_e32 v[8:9], s[8:9], v[12:13]
	v_cvt_f64_f32_e32 v[12:13], v10
	v_add_nc_u32_e32 v18, 0xfffffc10, v23
	v_and_or_b32 v2, 0xffe, v22, v2
	s_wait_alu 0xfffd
	v_cndmask_b32_e64 v27, 0, 1, vcc_lo
	v_cmp_ne_u32_e32 vcc_lo, 0, v20
	v_sub_nc_u32_e32 v22, 0x3f1, v23
	v_lshl_or_b32 v20, v24, 12, v6
	s_delay_alu instid0(VALU_DEP_4)
	v_or_b32_e32 v19, v19, v27
	s_wait_alu 0xfffd
	v_cndmask_b32_e64 v10, 0, 1, vcc_lo
	v_cmp_gt_i32_e32 vcc_lo, 31, v21
	v_or_b32_e32 v27, 0x1000, v2
	v_med3_i32 v22, v22, 0, 13
	s_delay_alu instid0(VALU_DEP_4)
	v_lshl_or_b32 v10, v10, 9, 0x7c00
	s_wait_alu 0xfffd
	v_cndmask_b32_e32 v26, 0x7c00, v26, vcc_lo
	v_cmp_gt_i32_e32 vcc_lo, 1, v24
	s_wait_alu 0xfffd
	v_cndmask_b32_e32 v19, v20, v19, vcc_lo
	v_lshrrev_b32_e32 v20, v22, v27
	v_cmp_eq_u32_e32 vcc_lo, 0x40f, v21
	s_delay_alu instid0(VALU_DEP_3) | instskip(NEXT) | instid1(VALU_DEP_3)
	v_and_b32_e32 v21, 7, v19
	v_lshlrev_b32_e32 v22, v22, v20
	s_wait_alu 0xfffd
	v_cndmask_b32_e32 v10, v26, v10, vcc_lo
	s_delay_alu instid0(VALU_DEP_3) | instskip(NEXT) | instid1(VALU_DEP_3)
	v_cmp_lt_i32_e32 vcc_lo, 5, v21
	v_cmp_ne_u32_e64 s0, v22, v27
	s_delay_alu instid0(VALU_DEP_3) | instskip(SKIP_1) | instid1(VALU_DEP_2)
	v_and_or_b32 v10, 0x8000, v15, v10
	s_wait_alu 0xf1ff
	v_cndmask_b32_e64 v15, 0, 1, s0
	v_cmp_eq_u32_e64 s0, 3, v21
	v_and_b32_e32 v21, 0xffff, v14
	v_lshrrev_b32_e32 v14, 2, v19
	v_lshl_or_b32 v19, v18, 12, v2
	v_or_b32_e32 v15, v20, v15
	s_or_b32 vcc_lo, s0, vcc_lo
	v_and_or_b32 v8, 0x1ff, v9, v8
	s_wait_alu 0xfffe
	v_add_co_ci_u32_e32 v14, vcc_lo, 0, v14, vcc_lo
	v_cmp_ne_u32_e32 vcc_lo, 0, v6
	v_mul_f64_e32 v[12:13], s[8:9], v[12:13]
	v_lshrrev_b32_e32 v23, 8, v9
	v_bfe_u32 v25, v9, 20, 11
	v_lshl_or_b32 v21, v10, 16, v21
	s_wait_alu 0xfffd
	v_cndmask_b32_e64 v6, 0, 1, vcc_lo
	v_cmp_gt_i32_e32 vcc_lo, 1, v18
	s_delay_alu instid0(VALU_DEP_2) | instskip(SKIP_4) | instid1(VALU_DEP_3)
	v_lshl_or_b32 v6, v6, 9, 0x7c00
	s_wait_alu 0xfffd
	v_cndmask_b32_e32 v15, v19, v15, vcc_lo
	v_cmp_gt_i32_e32 vcc_lo, 31, v24
	v_lshrrev_b32_e32 v19, 16, v11
	v_and_b32_e32 v20, 7, v15
	s_wait_alu 0xfffd
	v_cndmask_b32_e32 v14, 0x7c00, v14, vcc_lo
	v_cmp_ne_u32_e32 vcc_lo, 0, v8
	v_mul_f16_e32 v22, v47, v19
	v_cmp_eq_u32_e64 s0, 3, v20
	s_wait_alu 0xfffd
	v_cndmask_b32_e64 v8, 0, 1, vcc_lo
	v_cmp_eq_u32_e32 vcc_lo, 0x40f, v24
	v_fmac_f16_e32 v22, v46, v11
	v_mul_f16_e32 v11, v47, v11
	s_delay_alu instid0(VALU_DEP_4)
	v_and_or_b32 v8, 0xffe, v23, v8
	s_wait_alu 0xfffd
	v_cndmask_b32_e32 v6, v14, v6, vcc_lo
	v_cmp_lt_i32_e32 vcc_lo, 5, v20
	v_lshrrev_b32_e32 v20, 2, v15
	v_sub_nc_u32_e32 v14, 0x3f1, v25
	v_cvt_f32_f16_e32 v22, v22
	v_or_b32_e32 v23, 0x1000, v8
	s_or_b32 vcc_lo, s0, vcc_lo
	v_and_or_b32 v6, 0x8000, v7, v6
	s_wait_alu 0xfffe
	v_add_co_ci_u32_e32 v20, vcc_lo, 0, v20, vcc_lo
	v_med3_i32 v24, v14, 0, 13
	v_cmp_ne_u32_e32 vcc_lo, 0, v2
	v_cvt_f64_f32_e32 v[14:15], v22
	v_and_or_b32 v10, 0x1ff, v13, v12
	v_add_nc_u32_e32 v12, 0xfffffc10, v25
	v_lshrrev_b32_e32 v22, v24, v23
	s_wait_alu 0xfffd
	v_cndmask_b32_e64 v2, 0, 1, vcc_lo
	v_cmp_gt_i32_e32 vcc_lo, 31, v18
	v_fma_f16 v11, v46, v19, -v11
	v_lshlrev_b32_e32 v7, v24, v22
	s_delay_alu instid0(VALU_DEP_4)
	v_lshl_or_b32 v2, v2, 9, 0x7c00
	s_wait_alu 0xfffd
	v_cndmask_b32_e32 v20, 0x7c00, v20, vcc_lo
	v_cmp_eq_u32_e32 vcc_lo, 0x40f, v18
	v_lshrrev_b32_e32 v18, 8, v13
	s_wait_alu 0xfffd
	s_delay_alu instid0(VALU_DEP_3) | instskip(SKIP_3) | instid1(VALU_DEP_4)
	v_cndmask_b32_e32 v2, v20, v2, vcc_lo
	v_cmp_ne_u32_e32 vcc_lo, v7, v23
	v_bfe_u32 v20, v13, 20, 11
	v_lshrrev_b32_e32 v13, 16, v13
	v_and_or_b32 v24, 0x8000, v3, v2
	s_wait_alu 0xfffd
	v_cndmask_b32_e64 v7, 0, 1, vcc_lo
	v_cmp_ne_u32_e32 vcc_lo, 0, v10
	s_delay_alu instid0(VALU_DEP_2) | instskip(SKIP_4) | instid1(VALU_DEP_3)
	v_or_b32_e32 v7, v22, v7
	s_wait_alu 0xfffd
	v_cndmask_b32_e64 v10, 0, 1, vcc_lo
	v_lshl_or_b32 v22, v12, 12, v8
	v_cmp_gt_i32_e32 vcc_lo, 1, v12
	v_and_or_b32 v23, 0xffe, v18, v10
	v_sub_nc_u32_e32 v10, 0x3f1, v20
	s_wait_alu 0xfffd
	v_cndmask_b32_e32 v18, v22, v7, vcc_lo
	v_add_co_u32 v4, vcc_lo, v4, s2
	v_or_b32_e32 v19, 0x1000, v23
	v_med3_i32 v22, v10, 0, 13
	s_delay_alu instid0(VALU_DEP_4)
	v_and_b32_e32 v26, 7, v18
	s_wait_alu 0xfffd
	v_add_co_ci_u32_e32 v5, vcc_lo, s3, v5, vcc_lo
	v_mul_f64_e32 v[2:3], s[8:9], v[14:15]
	v_lshrrev_b32_e32 v27, v22, v19
	v_cmp_lt_i32_e32 vcc_lo, 5, v26
	v_cmp_eq_u32_e64 s0, 3, v26
	v_lshrrev_b32_e32 v15, 2, v18
	v_add_nc_u32_e32 v20, 0xfffffc10, v20
	v_lshlrev_b32_e32 v14, v22, v27
	v_cvt_f32_f16_e32 v7, v11
	s_or_b32 vcc_lo, s0, vcc_lo
	ds_load_2addr_b32 v[10:11], v17 offset0:96 offset1:144
	s_wait_alu 0xfffe
	v_add_co_ci_u32_e32 v15, vcc_lo, 0, v15, vcc_lo
	v_cmp_ne_u32_e64 s1, v14, v19
	v_cmp_ne_u32_e32 vcc_lo, 0, v8
	v_lshl_or_b32 v17, v20, 12, v23
	v_lshrrev_b32_e32 v26, 16, v9
	global_store_b32 v[4:5], v21, off
	s_wait_alu 0xf1ff
	v_cndmask_b32_e64 v14, 0, 1, s1
	s_wait_alu 0xfffd
	v_cndmask_b32_e64 v8, 0, 1, vcc_lo
	v_cmp_gt_i32_e32 vcc_lo, 31, v12
	s_delay_alu instid0(VALU_DEP_3) | instskip(NEXT) | instid1(VALU_DEP_3)
	v_or_b32_e32 v14, v27, v14
	v_lshl_or_b32 v8, v8, 9, 0x7c00
	s_wait_alu 0xfffd
	v_cndmask_b32_e32 v18, 0x7c00, v15, vcc_lo
	v_cmp_gt_i32_e32 vcc_lo, 1, v20
	s_wait_alu 0xfffd
	v_cndmask_b32_e32 v17, v17, v14, vcc_lo
	v_add_co_u32 v14, vcc_lo, v4, s2
	s_wait_alu 0xfffd
	v_add_co_ci_u32_e32 v15, vcc_lo, s3, v5, vcc_lo
	v_cmp_eq_u32_e32 vcc_lo, 0x40f, v12
	v_and_b32_e32 v25, 0xffff, v6
	v_cvt_f64_f32_e32 v[6:7], v7
	v_and_or_b32 v2, 0x1ff, v3, v2
	v_bfe_u32 v27, v3, 20, 11
	s_wait_alu 0xfffd
	v_cndmask_b32_e32 v12, v18, v8, vcc_lo
	v_lshl_or_b32 v22, v24, 16, v25
	s_wait_dscnt 0x0
	v_lshrrev_b32_e32 v24, 16, v10
	v_and_b32_e32 v25, 7, v17
	v_cmp_ne_u32_e64 s1, 0, v2
	v_sub_nc_u32_e32 v28, 0x3f1, v27
	v_and_or_b32 v4, 0x8000, v26, v12
	v_mul_f16_e32 v19, v45, v24
	v_cmp_lt_i32_e32 vcc_lo, 5, v25
	v_cmp_eq_u32_e64 s0, 3, v25
	s_wait_alu 0xf1ff
	v_cndmask_b32_e64 v2, 0, 1, s1
	v_lshrrev_b32_e32 v25, 8, v3
	v_fmac_f16_e32 v19, v43, v10
	v_med3_i32 v28, v28, 0, 13
	s_or_b32 vcc_lo, s0, vcc_lo
	v_mul_f16_e32 v10, v45, v10
	v_and_or_b32 v25, 0xffe, v25, v2
	v_cvt_f32_f16_e32 v8, v19
	v_lshrrev_b32_e32 v19, 2, v17
	v_mad_co_u64_u32 v[17:18], null, s4, v42, 0
	s_delay_alu instid0(VALU_DEP_4) | instskip(NEXT) | instid1(VALU_DEP_4)
	v_or_b32_e32 v29, 0x1000, v25
	v_cvt_f64_f32_e32 v[8:9], v8
	s_wait_alu 0xfffe
	v_add_co_ci_u32_e32 v19, vcc_lo, 0, v19, vcc_lo
	v_cmp_ne_u32_e32 vcc_lo, 0, v23
	v_dual_mov_b32 v2, v18 :: v_dual_add_nc_u32 v21, 0xfffffc10, v27
	global_store_b32 v[14:15], v22, off
	s_wait_alu 0xfffd
	v_cndmask_b32_e64 v23, 0, 1, vcc_lo
	v_cmp_gt_i32_e32 vcc_lo, 31, v20
	v_mul_f64_e32 v[6:7], s[8:9], v[6:7]
	s_wait_alu 0xfffd
	v_cndmask_b32_e32 v30, 0x7c00, v19, vcc_lo
	v_mad_co_u64_u32 v[18:19], null, s5, v42, v[2:3]
	v_lshrrev_b32_e32 v2, v28, v29
	v_lshl_or_b32 v23, v23, 9, 0x7c00
	v_cmp_eq_u32_e32 vcc_lo, 0x40f, v20
	v_and_b32_e32 v20, 0xffff, v4
	s_delay_alu instid0(VALU_DEP_4) | instskip(SKIP_2) | instid1(VALU_DEP_2)
	v_lshlrev_b32_e32 v5, v28, v2
	s_wait_alu 0xfffd
	v_cndmask_b32_e32 v19, v30, v23, vcc_lo
	v_cmp_ne_u32_e32 vcc_lo, v5, v29
	s_delay_alu instid0(VALU_DEP_2) | instskip(SKIP_2) | instid1(VALU_DEP_1)
	v_and_or_b32 v19, 0x8000, v13, v19
	s_wait_alu 0xfffd
	v_cndmask_b32_e64 v12, 0, 1, vcc_lo
	v_or_b32_e32 v2, v2, v12
	v_mul_f64_e32 v[4:5], s[8:9], v[8:9]
	v_fma_f16 v9, v43, v24, -v10
	v_lshl_or_b32 v8, v21, 12, v25
	v_lshlrev_b64_e32 v[12:13], 2, v[17:18]
	v_lshl_or_b32 v17, v19, 16, v20
	s_delay_alu instid0(VALU_DEP_4) | instskip(SKIP_4) | instid1(VALU_DEP_4)
	v_cvt_f32_f16_e32 v9, v9
	v_and_or_b32 v6, 0x1ff, v7, v6
	v_lshrrev_b32_e32 v10, 8, v7
	v_bfe_u32 v22, v7, 20, 11
	v_lshrrev_b32_e32 v7, 16, v7
	v_cmp_ne_u32_e32 vcc_lo, 0, v6
	s_wait_alu 0xfffd
	v_cndmask_b32_e64 v6, 0, 1, vcc_lo
	v_cmp_gt_i32_e32 vcc_lo, 1, v21
	s_delay_alu instid0(VALU_DEP_2)
	v_and_or_b32 v6, 0xffe, v10, v6
	v_sub_nc_u32_e32 v10, 0x3f1, v22
	s_wait_alu 0xfffd
	v_cndmask_b32_e32 v2, v8, v2, vcc_lo
	v_cvt_f64_f32_e32 v[8:9], v9
	v_add_co_u32 v12, vcc_lo, v0, v12
	v_or_b32_e32 v19, 0x1000, v6
	v_med3_i32 v10, v10, 0, 13
	v_and_b32_e32 v18, 7, v2
	s_wait_alu 0xfffd
	v_add_co_ci_u32_e32 v13, vcc_lo, v1, v13, vcc_lo
	v_lshrrev_b32_e32 v2, 2, v2
	v_lshrrev_b32_e32 v20, v10, v19
	v_cmp_lt_i32_e32 vcc_lo, 5, v18
	v_cmp_eq_u32_e64 s0, 3, v18
	global_store_b32 v[12:13], v17, off
	v_lshrrev_b32_e32 v17, 16, v11
	v_lshlrev_b32_e32 v10, v10, v20
	v_and_or_b32 v4, 0x1ff, v5, v4
	s_or_b32 vcc_lo, s0, vcc_lo
	v_add_nc_u32_e32 v18, 0xfffffc10, v22
	s_wait_alu 0xfffe
	v_add_co_ci_u32_e32 v2, vcc_lo, 0, v2, vcc_lo
	v_cmp_ne_u32_e32 vcc_lo, v10, v19
	v_mul_f16_e32 v12, v44, v17
	v_lshl_or_b32 v13, v18, 12, v6
	v_bfe_u32 v22, v5, 20, 11
	s_wait_alu 0xfffd
	v_cndmask_b32_e64 v10, 0, 1, vcc_lo
	v_cmp_ne_u32_e32 vcc_lo, 0, v25
	v_fmac_f16_e32 v12, v41, v11
	v_mul_f16_e32 v11, v44, v11
	s_delay_alu instid0(VALU_DEP_4)
	v_or_b32_e32 v10, v20, v10
	s_wait_alu 0xfffd
	v_cndmask_b32_e64 v19, 0, 1, vcc_lo
	v_cmp_ne_u32_e32 vcc_lo, 0, v4
	v_cvt_f32_f16_e32 v12, v12
	v_lshrrev_b32_e32 v20, 8, v5
	s_delay_alu instid0(VALU_DEP_4) | instskip(SKIP_4) | instid1(VALU_DEP_3)
	v_lshl_or_b32 v19, v19, 9, 0x7c00
	s_wait_alu 0xfffd
	v_cndmask_b32_e64 v4, 0, 1, vcc_lo
	v_cmp_gt_i32_e32 vcc_lo, 1, v18
	v_mul_f64_e32 v[8:9], s[8:9], v[8:9]
	v_and_or_b32 v4, 0xffe, v20, v4
	s_wait_alu 0xfffd
	v_cndmask_b32_e32 v10, v13, v10, vcc_lo
	v_cvt_f64_f32_e32 v[12:13], v12
	v_cmp_gt_i32_e32 vcc_lo, 31, v21
	v_sub_nc_u32_e32 v20, 0x3f1, v22
	v_or_b32_e32 v24, 0x1000, v4
	v_and_b32_e32 v23, 7, v10
	s_wait_alu 0xfffd
	v_cndmask_b32_e32 v2, 0x7c00, v2, vcc_lo
	v_cmp_eq_u32_e32 vcc_lo, 0x40f, v21
	v_med3_i32 v20, v20, 0, 13
	v_cmp_eq_u32_e64 s0, 3, v23
	s_wait_alu 0xfffd
	v_cndmask_b32_e32 v19, v2, v19, vcc_lo
	v_cmp_lt_i32_e32 vcc_lo, 5, v23
	v_fma_f16 v2, v41, v17, -v11
	v_lshrrev_b32_e32 v11, v20, v24
	v_lshrrev_b32_e32 v17, 16, v3
	;; [unrolled: 1-line block ×3, first 2 shown]
	s_or_b32 vcc_lo, s0, vcc_lo
	v_cvt_f32_f16_e32 v2, v2
	v_lshlrev_b32_e32 v10, v20, v11
	v_and_or_b32 v17, 0x8000, v17, v19
	s_wait_alu 0xfffe
	v_add_co_ci_u32_e32 v20, vcc_lo, 0, v3, vcc_lo
	v_cmp_ne_u32_e32 vcc_lo, 0, v6
	v_cvt_f64_f32_e32 v[2:3], v2
	v_and_b32_e32 v17, 0xffff, v17
	s_wait_alu 0xfffd
	v_cndmask_b32_e64 v6, 0, 1, vcc_lo
	v_cmp_ne_u32_e32 vcc_lo, v10, v24
	v_and_or_b32 v8, 0x1ff, v9, v8
	s_delay_alu instid0(VALU_DEP_3) | instskip(SKIP_3) | instid1(VALU_DEP_2)
	v_lshl_or_b32 v6, v6, 9, 0x7c00
	s_wait_alu 0xfffd
	v_cndmask_b32_e64 v10, 0, 1, vcc_lo
	v_cmp_gt_i32_e32 vcc_lo, 31, v18
	v_or_b32_e32 v19, v11, v10
	v_add_nc_u32_e32 v21, 0xfffffc10, v22
	s_wait_alu 0xfffd
	v_cndmask_b32_e32 v20, 0x7c00, v20, vcc_lo
	v_cmp_eq_u32_e32 vcc_lo, 0x40f, v18
	v_mul_f64_e32 v[10:11], s[8:9], v[12:13]
	v_lshrrev_b32_e32 v13, 8, v9
	v_lshl_or_b32 v22, v21, 12, v4
	s_wait_alu 0xfffd
	v_cndmask_b32_e32 v6, v20, v6, vcc_lo
	v_cmp_gt_i32_e32 vcc_lo, 1, v21
	s_delay_alu instid0(VALU_DEP_2)
	v_and_or_b32 v20, 0x8000, v7, v6
	s_wait_alu 0xfffd
	v_cndmask_b32_e32 v12, v22, v19, vcc_lo
	v_cmp_ne_u32_e32 vcc_lo, 0, v8
	v_bfe_u32 v19, v9, 20, 11
	ds_load_2addr_b32 v[6:7], v16 offset0:64 offset1:112
	v_lshl_or_b32 v17, v20, 16, v17
	v_and_b32_e32 v18, 7, v12
	s_wait_alu 0xfffd
	v_cndmask_b32_e64 v8, 0, 1, vcc_lo
	v_lshrrev_b32_e32 v12, 2, v12
	v_mul_f64_e32 v[2:3], s[8:9], v[2:3]
	v_cmp_lt_i32_e32 vcc_lo, 5, v18
	v_cmp_eq_u32_e64 s0, 3, v18
	v_and_or_b32 v8, 0xffe, v13, v8
	v_sub_nc_u32_e32 v13, 0x3f1, v19
	s_delay_alu instid0(VALU_DEP_3) | instskip(NEXT) | instid1(VALU_DEP_2)
	s_or_b32 vcc_lo, s0, vcc_lo
	v_or_b32_e32 v18, 0x1000, v8
	s_delay_alu instid0(VALU_DEP_2)
	v_med3_i32 v22, v13, 0, 13
	s_wait_alu 0xfffe
	v_add_co_ci_u32_e32 v20, vcc_lo, 0, v12, vcc_lo
	v_add_co_u32 v12, vcc_lo, v14, s6
	s_wait_alu 0xfffd
	v_add_co_ci_u32_e32 v13, vcc_lo, s7, v15, vcc_lo
	v_lshrrev_b32_e32 v23, v22, v18
	v_cmp_gt_i32_e32 vcc_lo, 31, v21
	v_and_or_b32 v10, 0x1ff, v11, v10
	v_bfe_u32 v24, v11, 20, 11
	s_wait_alu 0xfffd
	v_dual_cndmask_b32 v15, 0x7c00, v20 :: v_dual_lshlrev_b32 v14, v22, v23
	v_cmp_ne_u32_e32 vcc_lo, 0, v4
	global_store_b32 v[12:13], v17, off
	s_wait_alu 0xfffd
	v_cndmask_b32_e64 v4, 0, 1, vcc_lo
	v_cmp_ne_u32_e32 vcc_lo, v14, v18
	v_add_nc_u32_e32 v18, 0xfffffc10, v19
	s_wait_dscnt 0x0
	v_lshrrev_b32_e32 v19, 16, v6
	v_lshl_or_b32 v4, v4, 9, 0x7c00
	s_wait_alu 0xfffd
	v_cndmask_b32_e64 v14, 0, 1, vcc_lo
	v_cmp_ne_u32_e32 vcc_lo, 0, v10
	v_lshl_or_b32 v20, v18, 12, v8
	v_mul_f16_e32 v22, v40, v19
	v_and_or_b32 v2, 0x1ff, v3, v2
	v_or_b32_e32 v14, v23, v14
	s_wait_alu 0xfffd
	v_cndmask_b32_e64 v10, 0, 1, vcc_lo
	v_cmp_gt_i32_e32 vcc_lo, 1, v18
	v_lshrrev_b32_e32 v23, 8, v11
	v_fmac_f16_e32 v22, v39, v6
	s_wait_alu 0xfffd
	v_cndmask_b32_e32 v20, v20, v14, vcc_lo
	v_cmp_eq_u32_e32 vcc_lo, 0x40f, v21
	v_and_or_b32 v10, 0xffe, v23, v10
	v_sub_nc_u32_e32 v14, 0x3f1, v24
	v_cvt_f32_f16_e32 v22, v22
	v_add_nc_u32_e32 v24, 0xfffffc10, v24
	s_wait_alu 0xfffd
	v_cndmask_b32_e32 v21, v15, v4, vcc_lo
	v_and_b32_e32 v4, 7, v20
	v_or_b32_e32 v23, 0x1000, v10
	v_med3_i32 v25, v14, 0, 13
	v_cvt_f64_f32_e32 v[14:15], v22
	v_lshrrev_b32_e32 v22, 16, v5
	v_cmp_lt_i32_e32 vcc_lo, 5, v4
	v_cmp_eq_u32_e64 s0, 3, v4
	v_lshrrev_b32_e32 v4, 2, v20
	v_lshrrev_b32_e32 v20, v25, v23
	v_mul_f16_e32 v5, v40, v6
	v_and_or_b32 v17, 0x8000, v22, v21
	s_or_b32 vcc_lo, s0, vcc_lo
	s_wait_alu 0xfffe
	v_add_co_ci_u32_e32 v6, vcc_lo, 0, v4, vcc_lo
	v_lshlrev_b32_e32 v4, v25, v20
	v_cmp_ne_u32_e32 vcc_lo, 0, v2
	v_fma_f16 v5, v39, v19, -v5
	v_lshrrev_b32_e32 v19, 8, v3
	v_bfe_u32 v25, v3, 20, 11
	s_wait_alu 0xfffd
	v_cndmask_b32_e64 v2, 0, 1, vcc_lo
	v_cmp_ne_u32_e32 vcc_lo, v4, v23
	v_cvt_f32_f16_e32 v5, v5
	s_delay_alu instid0(VALU_DEP_3)
	v_and_or_b32 v2, 0xffe, v19, v2
	s_wait_alu 0xfffd
	v_cndmask_b32_e64 v23, 0, 1, vcc_lo
	v_cmp_ne_u32_e32 vcc_lo, 0, v8
	v_sub_nc_u32_e32 v19, 0x3f1, v25
	v_cvt_f64_f32_e32 v[4:5], v5
	v_or_b32_e32 v26, 0x1000, v2
	v_or_b32_e32 v20, v20, v23
	s_wait_alu 0xfffd
	v_cndmask_b32_e64 v8, 0, 1, vcc_lo
	v_cmp_gt_i32_e32 vcc_lo, 31, v18
	v_lshl_or_b32 v23, v24, 12, v10
	v_med3_i32 v19, v19, 0, 13
	s_delay_alu instid0(VALU_DEP_4)
	v_lshl_or_b32 v8, v8, 9, 0x7c00
	s_wait_alu 0xfffd
	v_cndmask_b32_e32 v6, 0x7c00, v6, vcc_lo
	v_cmp_gt_i32_e32 vcc_lo, 1, v24
	v_mul_f64_e32 v[14:15], s[8:9], v[14:15]
	s_wait_alu 0xfffd
	v_cndmask_b32_e32 v20, v23, v20, vcc_lo
	v_lshrrev_b32_e32 v23, v19, v26
	v_cmp_eq_u32_e32 vcc_lo, 0x40f, v18
	s_delay_alu instid0(VALU_DEP_2)
	v_lshlrev_b32_e32 v18, v19, v23
	s_wait_alu 0xfffd
	v_cndmask_b32_e32 v6, v6, v8, vcc_lo
	v_lshrrev_b32_e32 v8, 16, v9
	v_and_b32_e32 v9, 7, v20
	v_cmp_ne_u32_e64 s0, v18, v26
	v_add_nc_u32_e32 v18, 0xfffffc10, v25
	s_delay_alu instid0(VALU_DEP_4) | instskip(NEXT) | instid1(VALU_DEP_4)
	v_and_or_b32 v6, 0x8000, v8, v6
	v_cmp_lt_i32_e32 vcc_lo, 5, v9
	s_wait_alu 0xf1ff
	v_cndmask_b32_e64 v8, 0, 1, s0
	v_cmp_eq_u32_e64 s0, 3, v9
	v_and_b32_e32 v9, 0xffff, v17
	v_lshrrev_b32_e32 v17, 2, v20
	v_lshl_or_b32 v19, v18, 12, v2
	v_or_b32_e32 v8, v23, v8
	s_or_b32 vcc_lo, s0, vcc_lo
	v_mul_f64_e32 v[4:5], s[8:9], v[4:5]
	s_wait_alu 0xfffe
	v_add_co_ci_u32_e32 v17, vcc_lo, 0, v17, vcc_lo
	v_cmp_ne_u32_e32 vcc_lo, 0, v10
	v_lshl_or_b32 v21, v6, 16, v9
	s_wait_alu 0xfffd
	v_cndmask_b32_e64 v10, 0, 1, vcc_lo
	v_cmp_gt_i32_e32 vcc_lo, 1, v18
	s_delay_alu instid0(VALU_DEP_2)
	v_lshl_or_b32 v10, v10, 9, 0x7c00
	s_wait_alu 0xfffd
	v_cndmask_b32_e32 v8, v19, v8, vcc_lo
	v_cmp_gt_i32_e32 vcc_lo, 31, v24
	v_lshrrev_b32_e32 v19, 16, v7
	s_wait_alu 0xfffd
	s_delay_alu instid0(VALU_DEP_3) | instskip(SKIP_1) | instid1(VALU_DEP_3)
	v_dual_cndmask_b32 v17, 0x7c00, v17 :: v_dual_and_b32 v20, 7, v8
	v_cmp_eq_u32_e32 vcc_lo, 0x40f, v24
	v_mul_f16_e32 v9, v38, v19
	v_lshrrev_b32_e32 v8, 2, v8
	s_delay_alu instid0(VALU_DEP_4)
	v_cmp_eq_u32_e64 s0, 3, v20
	s_wait_alu 0xfffd
	v_cndmask_b32_e32 v6, v17, v10, vcc_lo
	v_cmp_lt_i32_e32 vcc_lo, 5, v20
	v_fmac_f16_e32 v9, v37, v7
	v_lshrrev_b32_e32 v10, 16, v11
	v_and_or_b32 v11, 0x1ff, v15, v14
	v_lshrrev_b32_e32 v17, 8, v15
	s_or_b32 vcc_lo, s0, vcc_lo
	v_bfe_u32 v20, v15, 20, 11
	s_wait_alu 0xfffe
	v_add_co_ci_u32_e32 v14, vcc_lo, 0, v8, vcc_lo
	v_cvt_f32_f16_e32 v8, v9
	v_cmp_ne_u32_e32 vcc_lo, 0, v11
	v_and_or_b32 v6, 0x8000, v10, v6
	v_and_or_b32 v4, 0x1ff, v5, v4
	v_mul_f16_e32 v7, v38, v7
	v_cvt_f64_f32_e32 v[8:9], v8
	s_wait_alu 0xfffd
	v_cndmask_b32_e64 v11, 0, 1, vcc_lo
	v_cmp_ne_u32_e32 vcc_lo, 0, v2
	v_fma_f16 v19, v37, v19, -v7
	s_delay_alu instid0(VALU_DEP_3)
	v_and_or_b32 v17, 0xffe, v17, v11
	v_sub_nc_u32_e32 v11, 0x3f1, v20
	s_wait_alu 0xfffd
	v_cndmask_b32_e64 v2, 0, 1, vcc_lo
	v_cmp_gt_i32_e32 vcc_lo, 31, v18
	v_add_nc_u32_e32 v20, 0xfffffc10, v20
	v_or_b32_e32 v22, 0x1000, v17
	v_med3_i32 v11, v11, 0, 13
	v_lshl_or_b32 v2, v2, 9, 0x7c00
	s_wait_alu 0xfffd
	v_cndmask_b32_e32 v14, 0x7c00, v14, vcc_lo
	v_cmp_eq_u32_e32 vcc_lo, 0x40f, v18
	v_lshrrev_b32_e32 v18, v11, v22
	s_wait_alu 0xfffd
	s_delay_alu instid0(VALU_DEP_3)
	v_cndmask_b32_e32 v10, v14, v2, vcc_lo
	v_add_co_u32 v2, vcc_lo, v12, s2
	v_lshrrev_b32_e32 v14, 16, v3
	s_wait_alu 0xfffd
	v_add_co_ci_u32_e32 v3, vcc_lo, s3, v13, vcc_lo
	v_and_b32_e32 v13, 0xffff, v6
	v_lshlrev_b32_e32 v6, v11, v18
	v_cmp_ne_u32_e32 vcc_lo, 0, v4
	v_and_or_b32 v12, 0x8000, v14, v10
	v_lshrrev_b32_e32 v10, 8, v5
	v_bfe_u32 v14, v5, 20, 11
	global_store_b32 v[2:3], v21, off
	s_wait_alu 0xfffd
	v_cndmask_b32_e64 v4, 0, 1, vcc_lo
	v_cmp_ne_u32_e32 vcc_lo, v6, v22
	s_delay_alu instid0(VALU_DEP_2)
	v_and_or_b32 v4, 0xffe, v10, v4
	s_wait_alu 0xfffd
	v_cndmask_b32_e64 v6, 0, 1, vcc_lo
	v_sub_nc_u32_e32 v10, 0x3f1, v14
	v_cmp_gt_i32_e32 vcc_lo, 1, v20
	v_or_b32_e32 v22, 0x1000, v4
	s_delay_alu instid0(VALU_DEP_4)
	v_or_b32_e32 v11, v18, v6
	v_mul_f64_e32 v[6:7], s[8:9], v[8:9]
	v_lshl_or_b32 v18, v20, 12, v17
	v_med3_i32 v23, v10, 0, 13
	ds_load_2addr_b32 v[8:9], v16 offset0:160 offset1:208
	v_cvt_f32_f16_e32 v10, v19
	v_lshl_or_b32 v19, v12, 16, v13
	s_wait_alu 0xfffd
	v_cndmask_b32_e32 v16, v18, v11, vcc_lo
	v_lshrrev_b32_e32 v18, v23, v22
	v_add_co_u32 v2, vcc_lo, v2, s2
	v_cvt_f64_f32_e32 v[10:11], v10
	s_delay_alu instid0(VALU_DEP_4) | instskip(NEXT) | instid1(VALU_DEP_4)
	v_and_b32_e32 v12, 7, v16
	v_lshlrev_b32_e32 v13, v23, v18
	s_wait_alu 0xfffd
	v_add_co_ci_u32_e32 v3, vcc_lo, s3, v3, vcc_lo
	s_delay_alu instid0(VALU_DEP_3)
	v_cmp_lt_i32_e32 vcc_lo, 5, v12
	v_cmp_eq_u32_e64 s0, 3, v12
	v_lshrrev_b32_e32 v12, 2, v16
	v_cmp_ne_u32_e64 s1, v13, v22
	v_add_nc_u32_e32 v16, 0xfffffc10, v14
	global_store_b32 v[2:3], v19, off
	s_or_b32 vcc_lo, s0, vcc_lo
	s_wait_dscnt 0x0
	v_lshrrev_b32_e32 v21, 16, v8
	s_wait_alu 0xfffe
	v_add_co_ci_u32_e32 v12, vcc_lo, 0, v12, vcc_lo
	v_cndmask_b32_e64 v13, 0, 1, s1
	v_cmp_ne_u32_e32 vcc_lo, 0, v17
	v_lshl_or_b32 v14, v16, 12, v4
	s_delay_alu instid0(VALU_DEP_3) | instskip(SKIP_4) | instid1(VALU_DEP_3)
	v_or_b32_e32 v13, v18, v13
	v_mul_f16_e32 v18, v36, v21
	s_wait_alu 0xfffd
	v_cndmask_b32_e64 v17, 0, 1, vcc_lo
	v_cmp_gt_i32_e32 vcc_lo, 1, v16
	v_fmac_f16_e32 v18, v35, v8
	v_and_or_b32 v6, 0x1ff, v7, v6
	s_wait_alu 0xfffd
	v_cndmask_b32_e32 v14, v14, v13, vcc_lo
	v_cmp_gt_i32_e32 vcc_lo, 31, v20
	v_lshl_or_b32 v13, v17, 9, 0x7c00
	v_cvt_f32_f16_e32 v18, v18
	v_cmp_ne_u32_e64 s0, 0, v6
	s_wait_alu 0xfffd
	v_dual_cndmask_b32 v12, 0x7c00, v12 :: v_dual_and_b32 v17, 7, v14
	v_cmp_eq_u32_e32 vcc_lo, 0x40f, v20
	v_bfe_u32 v22, v7, 20, 11
	s_wait_alu 0xf1ff
	v_cndmask_b32_e64 v6, 0, 1, s0
	v_mul_f64_e32 v[10:11], s[8:9], v[10:11]
	v_cmp_eq_u32_e64 s0, 3, v17
	s_wait_alu 0xfffd
	v_cndmask_b32_e32 v20, v12, v13, vcc_lo
	v_cvt_f64_f32_e32 v[12:13], v18
	v_lshrrev_b32_e32 v18, 8, v7
	v_cmp_lt_i32_e32 vcc_lo, 5, v17
	v_lshrrev_b32_e32 v14, 2, v14
	v_lshrrev_b32_e32 v17, 16, v15
	v_add_nc_u32_e32 v19, 0xfffffc10, v22
	v_and_or_b32 v18, 0xffe, v18, v6
	v_sub_nc_u32_e32 v6, 0x3f1, v22
	s_or_b32 vcc_lo, s0, vcc_lo
	v_and_or_b32 v17, 0x8000, v17, v20
	s_wait_alu 0xfffe
	v_add_co_ci_u32_e32 v23, vcc_lo, 0, v14, vcc_lo
	v_or_b32_e32 v24, 0x1000, v18
	v_med3_i32 v6, v6, 0, 13
	v_cmp_ne_u32_e32 vcc_lo, 0, v4
	v_mad_co_u64_u32 v[14:15], null, s4, v33, 0
	v_mul_f16_e32 v8, v36, v8
	s_delay_alu instid0(VALU_DEP_4)
	v_lshrrev_b32_e32 v25, v6, v24
	s_wait_alu 0xfffd
	v_cndmask_b32_e64 v4, 0, 1, vcc_lo
	v_cmp_gt_i32_e32 vcc_lo, 31, v16
	v_and_b32_e32 v17, 0xffff, v17
	v_lshrrev_b32_e32 v7, 16, v7
	v_lshlrev_b32_e32 v6, v6, v25
	v_lshl_or_b32 v4, v4, 9, 0x7c00
	s_wait_alu 0xfffd
	v_cndmask_b32_e32 v23, 0x7c00, v23, vcc_lo
	v_cmp_eq_u32_e32 vcc_lo, 0x40f, v16
	s_wait_alu 0xfffd
	s_delay_alu instid0(VALU_DEP_2)
	v_cndmask_b32_e32 v16, v23, v4, vcc_lo
	v_cmp_ne_u32_e32 vcc_lo, v6, v24
	v_mov_b32_e32 v4, v15
	v_lshrrev_b32_e32 v15, 16, v5
	v_and_or_b32 v10, 0x1ff, v11, v10
	s_wait_alu 0xfffd
	v_cndmask_b32_e64 v6, 0, 1, vcc_lo
	v_mad_co_u64_u32 v[4:5], null, s5, v33, v[4:5]
	v_cmp_gt_i32_e32 vcc_lo, 1, v19
	v_and_or_b32 v16, 0x8000, v15, v16
	s_delay_alu instid0(VALU_DEP_4)
	v_or_b32_e32 v20, v25, v6
	v_mul_f64_e32 v[5:6], s[8:9], v[12:13]
	v_lshl_or_b32 v12, v19, 12, v18
	v_mov_b32_e32 v15, v4
	v_fma_f16 v4, v35, v21, -v8
	v_bfe_u32 v21, v11, 20, 11
	s_wait_alu 0xfffd
	v_cndmask_b32_e32 v8, v12, v20, vcc_lo
	v_cmp_ne_u32_e32 vcc_lo, 0, v10
	v_lshrrev_b32_e32 v20, 8, v11
	v_cvt_f32_f16_e32 v4, v4
	v_lshl_or_b32 v16, v16, 16, v17
	v_and_b32_e32 v22, 7, v8
	s_wait_alu 0xfffd
	v_cndmask_b32_e64 v10, 0, 1, vcc_lo
	v_lshrrev_b32_e32 v8, 2, v8
	v_cvt_f64_f32_e32 v[12:13], v4
	v_sub_nc_u32_e32 v4, 0x3f1, v21
	v_cmp_lt_i32_e32 vcc_lo, 5, v22
	v_and_or_b32 v10, 0xffe, v20, v10
	v_lshrrev_b32_e32 v20, 16, v9
	v_cmp_eq_u32_e64 s0, 3, v22
	v_med3_i32 v4, v4, 0, 13
	v_add_nc_u32_e32 v21, 0xfffffc10, v21
	v_or_b32_e32 v17, 0x1000, v10
	v_mul_f16_e32 v23, v34, v20
	s_or_b32 vcc_lo, s0, vcc_lo
	v_lshlrev_b64_e32 v[14:15], 2, v[14:15]
	s_wait_alu 0xfffe
	v_add_co_ci_u32_e32 v8, vcc_lo, 0, v8, vcc_lo
	v_lshrrev_b32_e32 v22, v4, v17
	v_cmp_ne_u32_e32 vcc_lo, 0, v18
	v_fmac_f16_e32 v23, v32, v9
	v_mul_f16_e32 v9, v34, v9
	v_lshl_or_b32 v25, v21, 12, v10
	v_lshlrev_b32_e32 v24, v4, v22
	s_wait_alu 0xfffd
	v_cndmask_b32_e64 v18, 0, 1, vcc_lo
	v_cmp_gt_i32_e32 vcc_lo, 31, v19
	v_cvt_f32_f16_e32 v4, v23
	v_fma_f16 v20, v32, v20, -v9
	v_lshrrev_b32_e32 v11, 16, v11
	v_lshl_or_b32 v18, v18, 9, 0x7c00
	s_wait_alu 0xfffd
	v_cndmask_b32_e32 v23, 0x7c00, v8, vcc_lo
	v_and_or_b32 v8, 0x1ff, v6, v5
	v_cmp_ne_u32_e32 vcc_lo, v24, v17
	v_cvt_f64_f32_e32 v[4:5], v4
	v_lshrrev_b32_e32 v24, 8, v6
	s_wait_alu 0xfffd
	v_cndmask_b32_e64 v17, 0, 1, vcc_lo
	v_cmp_ne_u32_e32 vcc_lo, 0, v8
	s_delay_alu instid0(VALU_DEP_2)
	v_or_b32_e32 v17, v22, v17
	s_wait_alu 0xfffd
	v_cndmask_b32_e64 v8, 0, 1, vcc_lo
	v_bfe_u32 v22, v6, 20, 11
	v_cmp_gt_i32_e32 vcc_lo, 1, v21
	v_lshrrev_b32_e32 v6, 16, v6
	s_delay_alu instid0(VALU_DEP_4)
	v_and_or_b32 v24, 0xffe, v24, v8
	v_mul_f64_e32 v[8:9], s[8:9], v[12:13]
	v_sub_nc_u32_e32 v12, 0x3f1, v22
	s_wait_alu 0xfffd
	v_cndmask_b32_e32 v17, v25, v17, vcc_lo
	v_cvt_f32_f16_e32 v13, v20
	v_cmp_eq_u32_e32 vcc_lo, 0x40f, v19
	v_or_b32_e32 v20, 0x1000, v24
	v_med3_i32 v25, v12, 0, 13
	v_and_b32_e32 v19, 7, v17
	v_cvt_f64_f32_e32 v[12:13], v13
	s_wait_alu 0xfffd
	v_cndmask_b32_e32 v18, v23, v18, vcc_lo
	v_add_co_u32 v0, vcc_lo, v0, v14
	v_lshrrev_b32_e32 v23, v25, v20
	s_wait_alu 0xfffd
	v_add_co_ci_u32_e32 v1, vcc_lo, v1, v15, vcc_lo
	v_cmp_lt_i32_e32 vcc_lo, 5, v19
	v_cmp_eq_u32_e64 s0, 3, v19
	v_and_or_b32 v15, 0x8000, v7, v18
	v_lshrrev_b32_e32 v7, 2, v17
	v_add_nc_u32_e32 v17, 0xfffffc10, v22
	v_lshlrev_b32_e32 v14, v25, v23
	s_or_b32 vcc_lo, s0, vcc_lo
	v_mul_f64_e32 v[4:5], s[8:9], v[4:5]
	s_wait_alu 0xfffe
	v_add_co_ci_u32_e32 v7, vcc_lo, 0, v7, vcc_lo
	v_cmp_ne_u32_e64 s1, v14, v20
	v_cmp_ne_u32_e32 vcc_lo, 0, v10
	v_lshl_or_b32 v18, v17, 12, v24
	s_wait_alu 0xf1ff
	s_delay_alu instid0(VALU_DEP_3) | instskip(SKIP_3) | instid1(VALU_DEP_3)
	v_cndmask_b32_e64 v14, 0, 1, s1
	s_wait_alu 0xfffd
	v_cndmask_b32_e64 v10, 0, 1, vcc_lo
	v_cmp_gt_i32_e32 vcc_lo, 31, v21
	v_or_b32_e32 v14, v23, v14
	s_delay_alu instid0(VALU_DEP_3)
	v_lshl_or_b32 v10, v10, 9, 0x7c00
	s_wait_alu 0xfffd
	v_cndmask_b32_e32 v7, 0x7c00, v7, vcc_lo
	v_cmp_gt_i32_e32 vcc_lo, 1, v17
	v_and_or_b32 v8, 0x1ff, v9, v8
	v_lshrrev_b32_e32 v20, 8, v9
	s_wait_alu 0xfffd
	v_cndmask_b32_e32 v14, v18, v14, vcc_lo
	v_cmp_eq_u32_e32 vcc_lo, 0x40f, v21
	s_delay_alu instid0(VALU_DEP_2)
	v_and_b32_e32 v18, 7, v14
	s_wait_alu 0xfffd
	v_cndmask_b32_e32 v10, v7, v10, vcc_lo
	v_cmp_ne_u32_e32 vcc_lo, 0, v8
	v_mul_f64_e32 v[7:8], s[8:9], v[12:13]
	v_bfe_u32 v12, v9, 20, 11
	v_cmp_eq_u32_e64 s0, 3, v18
	v_and_or_b32 v10, 0x8000, v11, v10
	v_and_b32_e32 v11, 0xffff, v15
	s_wait_alu 0xfffd
	v_cndmask_b32_e64 v19, 0, 1, vcc_lo
	v_cmp_lt_i32_e32 vcc_lo, 5, v18
	v_sub_nc_u32_e32 v15, 0x3f1, v12
	v_add_nc_u32_e32 v12, 0xfffffc10, v12
	v_lshl_or_b32 v10, v10, 16, v11
	v_lshrrev_b32_e32 v11, 2, v14
	v_and_or_b32 v13, 0xffe, v20, v19
	s_or_b32 vcc_lo, s0, vcc_lo
	v_med3_i32 v15, v15, 0, 13
	v_and_or_b32 v4, 0x1ff, v5, v4
	s_wait_alu 0xfffe
	v_add_co_ci_u32_e32 v11, vcc_lo, 0, v11, vcc_lo
	v_or_b32_e32 v14, 0x1000, v13
	v_cmp_ne_u32_e32 vcc_lo, 0, v24
	v_lshrrev_b32_e32 v20, 8, v5
	v_bfe_u32 v21, v5, 20, 11
	v_lshrrev_b32_e32 v9, 16, v9
	v_lshrrev_b32_e32 v19, v15, v14
	s_wait_alu 0xfffd
	v_cndmask_b32_e64 v18, 0, 1, vcc_lo
	v_cmp_gt_i32_e32 vcc_lo, 31, v17
	v_lshrrev_b32_e32 v5, 16, v5
	v_lshlrev_b32_e32 v15, v15, v19
	s_delay_alu instid0(VALU_DEP_4)
	v_lshl_or_b32 v18, v18, 9, 0x7c00
	s_wait_alu 0xfffd
	v_cndmask_b32_e32 v11, 0x7c00, v11, vcc_lo
	v_cmp_ne_u32_e32 vcc_lo, 0, v4
	s_wait_alu 0xfffd
	v_cndmask_b32_e64 v4, 0, 1, vcc_lo
	v_cmp_ne_u32_e32 vcc_lo, v15, v14
	v_sub_nc_u32_e32 v15, 0x3f1, v21
	v_and_or_b32 v7, 0x1ff, v8, v7
	s_delay_alu instid0(VALU_DEP_4)
	v_and_or_b32 v4, 0xffe, v20, v4
	s_wait_alu 0xfffd
	v_cndmask_b32_e64 v14, 0, 1, vcc_lo
	v_cmp_eq_u32_e32 vcc_lo, 0x40f, v17
	v_lshl_or_b32 v17, v12, 12, v13
	v_med3_i32 v15, v15, 0, 13
	v_bfe_u32 v20, v8, 20, 11
	v_or_b32_e32 v14, v19, v14
	s_wait_alu 0xfffd
	v_cndmask_b32_e32 v11, v11, v18, vcc_lo
	v_or_b32_e32 v18, 0x1000, v4
	v_cmp_gt_i32_e32 vcc_lo, 1, v12
	v_lshrrev_b32_e32 v19, 8, v8
	s_delay_alu instid0(VALU_DEP_4)
	v_and_or_b32 v6, 0x8000, v6, v11
	v_sub_nc_u32_e32 v11, 0x3f1, v20
	s_wait_alu 0xfffd
	v_cndmask_b32_e32 v14, v17, v14, vcc_lo
	v_lshrrev_b32_e32 v17, v15, v18
	v_cmp_ne_u32_e32 vcc_lo, 0, v7
	v_and_b32_e32 v6, 0xffff, v6
	v_med3_i32 v11, v11, 0, 13
	v_and_b32_e32 v22, 7, v14
	v_lshlrev_b32_e32 v15, v15, v17
	s_wait_alu 0xfffd
	v_cndmask_b32_e64 v7, 0, 1, vcc_lo
	v_lshrrev_b32_e32 v14, 2, v14
	v_cmp_lt_i32_e32 vcc_lo, 5, v22
	v_cmp_ne_u32_e64 s0, v15, v18
	s_delay_alu instid0(VALU_DEP_4) | instskip(SKIP_2) | instid1(VALU_DEP_3)
	v_and_or_b32 v7, 0xffe, v19, v7
	v_add_nc_u32_e32 v19, 0xfffffc10, v21
	s_wait_alu 0xf1ff
	v_cndmask_b32_e64 v15, 0, 1, s0
	v_cmp_eq_u32_e64 s0, 3, v22
	v_or_b32_e32 v18, 0x1000, v7
	v_lshl_or_b32 v21, v19, 12, v4
	s_delay_alu instid0(VALU_DEP_4) | instskip(NEXT) | instid1(VALU_DEP_4)
	v_or_b32_e32 v15, v17, v15
	s_or_b32 vcc_lo, s0, vcc_lo
	s_delay_alu instid0(VALU_DEP_3) | instskip(SKIP_3) | instid1(VALU_DEP_3)
	v_lshrrev_b32_e32 v17, v11, v18
	s_wait_alu 0xfffe
	v_add_co_ci_u32_e32 v14, vcc_lo, 0, v14, vcc_lo
	v_cmp_gt_i32_e32 vcc_lo, 1, v19
	v_lshlrev_b32_e32 v11, v11, v17
	s_wait_alu 0xfffd
	v_cndmask_b32_e32 v15, v21, v15, vcc_lo
	v_cmp_ne_u32_e32 vcc_lo, 0, v13
	s_wait_alu 0xfffd
	v_cndmask_b32_e64 v13, 0, 1, vcc_lo
	v_cmp_ne_u32_e32 vcc_lo, v11, v18
	v_add_nc_u32_e32 v18, 0xfffffc10, v20
	v_and_b32_e32 v20, 7, v15
	s_delay_alu instid0(VALU_DEP_4)
	v_lshl_or_b32 v13, v13, 9, 0x7c00
	s_wait_alu 0xfffd
	v_cndmask_b32_e64 v11, 0, 1, vcc_lo
	v_cmp_gt_i32_e32 vcc_lo, 31, v12
	v_cmp_gt_i32_e64 s1, 1, v18
	v_cmp_eq_u32_e64 s0, 3, v20
	s_delay_alu instid0(VALU_DEP_4)
	v_or_b32_e32 v11, v17, v11
	v_lshl_or_b32 v17, v18, 12, v7
	s_wait_alu 0xfffd
	v_cndmask_b32_e32 v14, 0x7c00, v14, vcc_lo
	v_cmp_lt_i32_e32 vcc_lo, 5, v20
	s_wait_alu 0xf1ff
	v_cndmask_b32_e64 v11, v17, v11, s1
	v_cmp_eq_u32_e64 s1, 0x40f, v12
	s_or_b32 vcc_lo, s0, vcc_lo
	s_delay_alu instid0(VALU_DEP_1)
	v_cndmask_b32_e64 v12, v14, v13, s1
	v_lshrrev_b32_e32 v13, 2, v15
	v_and_b32_e32 v14, 7, v11
	v_lshrrev_b32_e32 v11, 2, v11
	v_cmp_gt_i32_e64 s1, 31, v19
	v_and_or_b32 v9, 0x8000, v9, v12
	s_wait_alu 0xfffe
	v_add_co_ci_u32_e32 v13, vcc_lo, 0, v13, vcc_lo
	v_cmp_ne_u32_e32 vcc_lo, 0, v4
	v_cmp_eq_u32_e64 s0, 3, v14
	s_wait_alu 0xf1ff
	s_delay_alu instid0(VALU_DEP_3) | instskip(SKIP_3) | instid1(VALU_DEP_2)
	v_cndmask_b32_e64 v13, 0x7c00, v13, s1
	s_wait_alu 0xfffd
	v_cndmask_b32_e64 v4, 0, 1, vcc_lo
	v_cmp_lt_i32_e32 vcc_lo, 5, v14
	v_lshl_or_b32 v4, v4, 9, 0x7c00
	s_or_b32 vcc_lo, s0, vcc_lo
	s_wait_alu 0xfffe
	v_add_co_ci_u32_e32 v11, vcc_lo, 0, v11, vcc_lo
	v_cmp_ne_u32_e32 vcc_lo, 0, v7
	s_wait_alu 0xfffd
	v_cndmask_b32_e64 v7, 0, 1, vcc_lo
	v_cmp_eq_u32_e32 vcc_lo, 0x40f, v19
	s_delay_alu instid0(VALU_DEP_2) | instskip(SKIP_3) | instid1(VALU_DEP_2)
	v_lshl_or_b32 v7, v7, 9, 0x7c00
	s_wait_alu 0xfffd
	v_cndmask_b32_e32 v4, v13, v4, vcc_lo
	v_cmp_gt_i32_e32 vcc_lo, 31, v18
	v_and_or_b32 v4, 0x8000, v5, v4
	s_wait_alu 0xfffd
	v_cndmask_b32_e32 v11, 0x7c00, v11, vcc_lo
	v_cmp_eq_u32_e32 vcc_lo, 0x40f, v18
	s_wait_alu 0xfffd
	s_delay_alu instid0(VALU_DEP_2)
	v_cndmask_b32_e32 v5, v11, v7, vcc_lo
	v_lshrrev_b32_e32 v7, 16, v8
	v_add_co_u32 v2, vcc_lo, v2, s6
	s_wait_alu 0xfffd
	v_add_co_ci_u32_e32 v3, vcc_lo, s7, v3, vcc_lo
	v_lshl_or_b32 v8, v9, 16, v6
	v_and_or_b32 v6, 0x8000, v7, v5
	v_and_b32_e32 v7, 0xffff, v4
	v_add_co_u32 v4, vcc_lo, v2, s2
	s_wait_alu 0xfffd
	v_add_co_ci_u32_e32 v5, vcc_lo, s3, v3, vcc_lo
	s_delay_alu instid0(VALU_DEP_3) | instskip(NEXT) | instid1(VALU_DEP_3)
	v_lshl_or_b32 v9, v6, 16, v7
	v_add_co_u32 v6, vcc_lo, v4, s2
	s_wait_alu 0xfffd
	s_delay_alu instid0(VALU_DEP_3)
	v_add_co_ci_u32_e32 v7, vcc_lo, s3, v5, vcc_lo
	global_store_b32 v[0:1], v16, off
	global_store_b32 v[2:3], v10, off
	global_store_b32 v[4:5], v8, off
	global_store_b32 v[6:7], v9, off
.LBB0_10:
	s_nop 0
	s_sendmsg sendmsg(MSG_DEALLOC_VGPRS)
	s_endpgm
	.section	.rodata,"a",@progbits
	.p2align	6, 0x0
	.amdhsa_kernel bluestein_single_fwd_len768_dim1_half_op_CI_CI
		.amdhsa_group_segment_fixed_size 3072
		.amdhsa_private_segment_fixed_size 0
		.amdhsa_kernarg_size 104
		.amdhsa_user_sgpr_count 2
		.amdhsa_user_sgpr_dispatch_ptr 0
		.amdhsa_user_sgpr_queue_ptr 0
		.amdhsa_user_sgpr_kernarg_segment_ptr 1
		.amdhsa_user_sgpr_dispatch_id 0
		.amdhsa_user_sgpr_private_segment_size 0
		.amdhsa_wavefront_size32 1
		.amdhsa_uses_dynamic_stack 0
		.amdhsa_enable_private_segment 0
		.amdhsa_system_sgpr_workgroup_id_x 1
		.amdhsa_system_sgpr_workgroup_id_y 0
		.amdhsa_system_sgpr_workgroup_id_z 0
		.amdhsa_system_sgpr_workgroup_info 0
		.amdhsa_system_vgpr_workitem_id 0
		.amdhsa_next_free_vgpr 159
		.amdhsa_next_free_sgpr 20
		.amdhsa_reserve_vcc 1
		.amdhsa_float_round_mode_32 0
		.amdhsa_float_round_mode_16_64 0
		.amdhsa_float_denorm_mode_32 3
		.amdhsa_float_denorm_mode_16_64 3
		.amdhsa_fp16_overflow 0
		.amdhsa_workgroup_processor_mode 1
		.amdhsa_memory_ordered 1
		.amdhsa_forward_progress 0
		.amdhsa_round_robin_scheduling 0
		.amdhsa_exception_fp_ieee_invalid_op 0
		.amdhsa_exception_fp_denorm_src 0
		.amdhsa_exception_fp_ieee_div_zero 0
		.amdhsa_exception_fp_ieee_overflow 0
		.amdhsa_exception_fp_ieee_underflow 0
		.amdhsa_exception_fp_ieee_inexact 0
		.amdhsa_exception_int_div_zero 0
	.end_amdhsa_kernel
	.text
.Lfunc_end0:
	.size	bluestein_single_fwd_len768_dim1_half_op_CI_CI, .Lfunc_end0-bluestein_single_fwd_len768_dim1_half_op_CI_CI
                                        ; -- End function
	.section	.AMDGPU.csdata,"",@progbits
; Kernel info:
; codeLenInByte = 22040
; NumSgprs: 22
; NumVgprs: 159
; ScratchSize: 0
; MemoryBound: 0
; FloatMode: 240
; IeeeMode: 1
; LDSByteSize: 3072 bytes/workgroup (compile time only)
; SGPRBlocks: 2
; VGPRBlocks: 19
; NumSGPRsForWavesPerEU: 22
; NumVGPRsForWavesPerEU: 159
; Occupancy: 9
; WaveLimiterHint : 1
; COMPUTE_PGM_RSRC2:SCRATCH_EN: 0
; COMPUTE_PGM_RSRC2:USER_SGPR: 2
; COMPUTE_PGM_RSRC2:TRAP_HANDLER: 0
; COMPUTE_PGM_RSRC2:TGID_X_EN: 1
; COMPUTE_PGM_RSRC2:TGID_Y_EN: 0
; COMPUTE_PGM_RSRC2:TGID_Z_EN: 0
; COMPUTE_PGM_RSRC2:TIDIG_COMP_CNT: 0
	.text
	.p2alignl 7, 3214868480
	.fill 96, 4, 3214868480
	.type	__hip_cuid_f35c30fb023c98fa,@object ; @__hip_cuid_f35c30fb023c98fa
	.section	.bss,"aw",@nobits
	.globl	__hip_cuid_f35c30fb023c98fa
__hip_cuid_f35c30fb023c98fa:
	.byte	0                               ; 0x0
	.size	__hip_cuid_f35c30fb023c98fa, 1

	.ident	"AMD clang version 19.0.0git (https://github.com/RadeonOpenCompute/llvm-project roc-6.4.0 25133 c7fe45cf4b819c5991fe208aaa96edf142730f1d)"
	.section	".note.GNU-stack","",@progbits
	.addrsig
	.addrsig_sym __hip_cuid_f35c30fb023c98fa
	.amdgpu_metadata
---
amdhsa.kernels:
  - .args:
      - .actual_access:  read_only
        .address_space:  global
        .offset:         0
        .size:           8
        .value_kind:     global_buffer
      - .actual_access:  read_only
        .address_space:  global
        .offset:         8
        .size:           8
        .value_kind:     global_buffer
      - .actual_access:  read_only
        .address_space:  global
        .offset:         16
        .size:           8
        .value_kind:     global_buffer
      - .actual_access:  read_only
        .address_space:  global
        .offset:         24
        .size:           8
        .value_kind:     global_buffer
      - .actual_access:  read_only
        .address_space:  global
        .offset:         32
        .size:           8
        .value_kind:     global_buffer
      - .offset:         40
        .size:           8
        .value_kind:     by_value
      - .address_space:  global
        .offset:         48
        .size:           8
        .value_kind:     global_buffer
      - .address_space:  global
        .offset:         56
        .size:           8
        .value_kind:     global_buffer
      - .address_space:  global
        .offset:         64
        .size:           8
        .value_kind:     global_buffer
      - .address_space:  global
        .offset:         72
        .size:           8
        .value_kind:     global_buffer
      - .offset:         80
        .size:           4
        .value_kind:     by_value
      - .address_space:  global
        .offset:         88
        .size:           8
        .value_kind:     global_buffer
      - .address_space:  global
        .offset:         96
        .size:           8
        .value_kind:     global_buffer
    .group_segment_fixed_size: 3072
    .kernarg_segment_align: 8
    .kernarg_segment_size: 104
    .language:       OpenCL C
    .language_version:
      - 2
      - 0
    .max_flat_workgroup_size: 48
    .name:           bluestein_single_fwd_len768_dim1_half_op_CI_CI
    .private_segment_fixed_size: 0
    .sgpr_count:     22
    .sgpr_spill_count: 0
    .symbol:         bluestein_single_fwd_len768_dim1_half_op_CI_CI.kd
    .uniform_work_group_size: 1
    .uses_dynamic_stack: false
    .vgpr_count:     159
    .vgpr_spill_count: 0
    .wavefront_size: 32
    .workgroup_processor_mode: 1
amdhsa.target:   amdgcn-amd-amdhsa--gfx1201
amdhsa.version:
  - 1
  - 2
...

	.end_amdgpu_metadata
